;; amdgpu-corpus repo=pytorch/pytorch kind=compiled arch=gfx1250 opt=O3
	.amdgcn_target "amdgcn-amd-amdhsa--gfx1250"
	.amdhsa_code_object_version 6
	.section	.text._ZN2at6native12_GLOBAL__N_140fractional_max_pool3d_backward_out_frameIdEEvN5torch10headeronly6detail27GenericPackedTensorAccessorINS5_14TensorAccessorIN3c108ArrayRefIlEET_Lm4ENS4_16DefaultPtrTraitsElEENS_6detail16IndexBoundsCheckILm5ElEESB_Lm5ESC_lEENS6_INS7_ISA_KSB_Lm4ESC_lEESG_SI_Lm5ESC_lEENS6_INS7_ISA_KlLm4ESC_lEESG_SL_Lm5ESC_lEE,"axG",@progbits,_ZN2at6native12_GLOBAL__N_140fractional_max_pool3d_backward_out_frameIdEEvN5torch10headeronly6detail27GenericPackedTensorAccessorINS5_14TensorAccessorIN3c108ArrayRefIlEET_Lm4ENS4_16DefaultPtrTraitsElEENS_6detail16IndexBoundsCheckILm5ElEESB_Lm5ESC_lEENS6_INS7_ISA_KSB_Lm4ESC_lEESG_SI_Lm5ESC_lEENS6_INS7_ISA_KlLm4ESC_lEESG_SL_Lm5ESC_lEE,comdat
	.globl	_ZN2at6native12_GLOBAL__N_140fractional_max_pool3d_backward_out_frameIdEEvN5torch10headeronly6detail27GenericPackedTensorAccessorINS5_14TensorAccessorIN3c108ArrayRefIlEET_Lm4ENS4_16DefaultPtrTraitsElEENS_6detail16IndexBoundsCheckILm5ElEESB_Lm5ESC_lEENS6_INS7_ISA_KSB_Lm4ESC_lEESG_SI_Lm5ESC_lEENS6_INS7_ISA_KlLm4ESC_lEESG_SL_Lm5ESC_lEE ; -- Begin function _ZN2at6native12_GLOBAL__N_140fractional_max_pool3d_backward_out_frameIdEEvN5torch10headeronly6detail27GenericPackedTensorAccessorINS5_14TensorAccessorIN3c108ArrayRefIlEET_Lm4ENS4_16DefaultPtrTraitsElEENS_6detail16IndexBoundsCheckILm5ElEESB_Lm5ESC_lEENS6_INS7_ISA_KSB_Lm4ESC_lEESG_SI_Lm5ESC_lEENS6_INS7_ISA_KlLm4ESC_lEESG_SL_Lm5ESC_lEE
	.p2align	8
	.type	_ZN2at6native12_GLOBAL__N_140fractional_max_pool3d_backward_out_frameIdEEvN5torch10headeronly6detail27GenericPackedTensorAccessorINS5_14TensorAccessorIN3c108ArrayRefIlEET_Lm4ENS4_16DefaultPtrTraitsElEENS_6detail16IndexBoundsCheckILm5ElEESB_Lm5ESC_lEENS6_INS7_ISA_KSB_Lm4ESC_lEESG_SI_Lm5ESC_lEENS6_INS7_ISA_KlLm4ESC_lEESG_SL_Lm5ESC_lEE,@function
_ZN2at6native12_GLOBAL__N_140fractional_max_pool3d_backward_out_frameIdEEvN5torch10headeronly6detail27GenericPackedTensorAccessorINS5_14TensorAccessorIN3c108ArrayRefIlEET_Lm4ENS4_16DefaultPtrTraitsElEENS_6detail16IndexBoundsCheckILm5ElEESB_Lm5ESC_lEENS6_INS7_ISA_KSB_Lm4ESC_lEESG_SI_Lm5ESC_lEENS6_INS7_ISA_KlLm4ESC_lEESG_SL_Lm5ESC_lEE: ; @_ZN2at6native12_GLOBAL__N_140fractional_max_pool3d_backward_out_frameIdEEvN5torch10headeronly6detail27GenericPackedTensorAccessorINS5_14TensorAccessorIN3c108ArrayRefIlEET_Lm4ENS4_16DefaultPtrTraitsElEENS_6detail16IndexBoundsCheckILm5ElEESB_Lm5ESC_lEENS6_INS7_ISA_KSB_Lm4ESC_lEESG_SI_Lm5ESC_lEENS6_INS7_ISA_KlLm4ESC_lEESG_SL_Lm5ESC_lEE
; %bb.0:
	s_clause 0x2
	s_load_b32 s2, s[0:1], 0x114
	s_load_b128 s[4:7], s[0:1], 0x70
	s_load_b64 s[8:9], s[0:1], 0x80
	s_bfe_u32 s3, ttmp6, 0x4000c
	v_mov_b32_e32 v2, 0
	s_add_co_i32 s11, s3, 1
	s_and_b32 s10, ttmp6, 15
	s_mul_i32 s11, ttmp9, s11
	s_getreg_b32 s3, hwreg(HW_REG_IB_STS2, 6, 4)
	v_mov_b32_e32 v1, v2
	s_add_co_i32 s10, s10, s11
	s_wait_kmcnt 0x0
	s_and_b32 s2, s2, 0xffff
	s_cmp_eq_u32 s3, 0
	s_cselect_b32 s10, ttmp9, s10
	s_delay_alu instid0(SALU_CYCLE_1)
	v_mad_nc_u64_u32 v[4:5], s2, s10, v[0:1]
	s_mul_u64 s[10:11], s[8:9], s[6:7]
	s_mov_b32 s2, exec_lo
	s_mul_u64 s[4:5], s[10:11], s[4:5]
	s_delay_alu instid0(VALU_DEP_1) | instid1(SALU_CYCLE_1)
	v_cmpx_gt_i64_e64 s[4:5], v[4:5]
	s_cbranch_execz .LBB0_33
; %bb.1:
	v_dual_ashrrev_i32 v6, 31, v5 :: v_dual_bitop2_b32 v3, s9, v5 bitop3:0x54
                                        ; implicit-def: $vgpr8_vgpr9
	s_mov_b32 s2, exec_lo
	s_delay_alu instid0(VALU_DEP_1)
	v_cmpx_ne_u64_e32 0, v[2:3]
	s_xor_b32 s14, exec_lo, s2
	s_cbranch_execz .LBB0_3
; %bb.2:
	s_ashr_i32 s4, s9, 31
	s_mov_b32 s23, 0
	s_mov_b32 s5, s4
	v_dual_mov_b32 v7, v6 :: v_dual_mov_b32 v3, 0
	s_add_nc_u64 s[12:13], s[8:9], s[4:5]
	s_delay_alu instid0(SALU_CYCLE_1) | instskip(NEXT) | instid1(VALU_DEP_1)
	s_xor_b64 s[12:13], s[12:13], s[4:5]
	v_add_nc_u64_e32 v[0:1], v[4:5], v[6:7]
	s_cvt_f32_u32 s2, s12
	s_cvt_f32_u32 s5, s13
	s_sub_nc_u64 s[18:19], 0, s[12:13]
	v_dual_mov_b32 v9, v3 :: v_dual_mov_b32 v15, v3
	s_delay_alu instid0(SALU_CYCLE_1) | instskip(NEXT) | instid1(VALU_DEP_2)
	s_fmamk_f32 s2, s5, 0x4f800000, s2
	v_xor_b32_e32 v2, v0, v6
	v_xor_b32_e32 v8, v1, v6
	s_delay_alu instid0(SALU_CYCLE_1) | instskip(NEXT) | instid1(TRANS32_DEP_1)
	v_s_rcp_f32 s2, s2
	s_mul_f32 s2, s2, 0x5f7ffffc
	s_delay_alu instid0(SALU_CYCLE_3) | instskip(NEXT) | instid1(SALU_CYCLE_3)
	s_mul_f32 s5, s2, 0x2f800000
	s_trunc_f32 s5, s5
	s_delay_alu instid0(SALU_CYCLE_3) | instskip(SKIP_1) | instid1(SALU_CYCLE_2)
	s_fmamk_f32 s2, s5, 0xcf800000, s2
	s_cvt_u32_f32 s17, s5
	s_cvt_u32_f32 s16, s2
	s_delay_alu instid0(SALU_CYCLE_3) | instskip(NEXT) | instid1(SALU_CYCLE_1)
	s_mul_u64 s[20:21], s[18:19], s[16:17]
	s_mul_hi_u32 s25, s16, s21
	s_mul_i32 s24, s16, s21
	s_mul_hi_u32 s22, s16, s20
	s_mul_i32 s5, s17, s20
	s_add_nc_u64 s[24:25], s[22:23], s[24:25]
	s_mul_hi_u32 s2, s17, s20
	s_mul_hi_u32 s15, s17, s21
	s_add_co_u32 s5, s24, s5
	s_add_co_ci_u32 s22, s25, s2
	s_mul_i32 s20, s17, s21
	s_add_co_ci_u32 s21, s15, 0
	s_delay_alu instid0(SALU_CYCLE_1) | instskip(NEXT) | instid1(SALU_CYCLE_1)
	s_add_nc_u64 s[20:21], s[22:23], s[20:21]
	s_add_co_u32 s16, s16, s20
	s_cselect_b32 s2, -1, 0
	s_delay_alu instid0(SALU_CYCLE_1) | instskip(SKIP_1) | instid1(SALU_CYCLE_1)
	s_cmp_lg_u32 s2, 0
	s_add_co_ci_u32 s17, s17, s21
	s_mul_u64 s[18:19], s[18:19], s[16:17]
	s_delay_alu instid0(SALU_CYCLE_1)
	s_mul_hi_u32 s21, s16, s19
	s_mul_i32 s20, s16, s19
	s_mul_hi_u32 s22, s16, s18
	s_mul_i32 s5, s17, s18
	s_add_nc_u64 s[20:21], s[22:23], s[20:21]
	s_mul_hi_u32 s2, s17, s18
	s_mul_hi_u32 s15, s17, s19
	s_add_co_u32 s5, s20, s5
	s_add_co_ci_u32 s22, s21, s2
	s_mul_i32 s18, s17, s19
	s_add_co_ci_u32 s19, s15, 0
	s_delay_alu instid0(SALU_CYCLE_1) | instskip(NEXT) | instid1(SALU_CYCLE_1)
	s_add_nc_u64 s[18:19], s[22:23], s[18:19]
	s_add_co_u32 s2, s16, s18
	s_cselect_b32 s5, -1, 0
	v_nop
	v_mul_hi_u32 v14, v2, s2
	s_cmp_lg_u32 s5, 0
	s_add_co_ci_u32 s22, s17, s19
	s_mov_b64 s[16:17], 0xffffffff
	v_mul_u64_e32 v[10:11], s[22:23], v[2:3]
	s_and_b64 s[16:17], s[2:3], s[16:17]
	v_mul_u64_e32 v[12:13], s[22:23], v[8:9]
	v_mul_u64_e32 v[0:1], s[16:17], v[8:9]
	s_delay_alu instid0(VALU_DEP_3) | instskip(NEXT) | instid1(VALU_DEP_1)
	v_add_nc_u64_e32 v[10:11], v[14:15], v[10:11]
	v_add_co_u32 v0, vcc_lo, v10, v0
	s_delay_alu instid0(VALU_DEP_2) | instskip(SKIP_1) | instid1(VALU_DEP_1)
	v_add_co_ci_u32_e32 v14, vcc_lo, v11, v1, vcc_lo
	v_add_co_ci_u32_e32 v13, vcc_lo, 0, v13, vcc_lo
	v_add_nc_u64_e32 v[0:1], v[14:15], v[12:13]
	s_delay_alu instid0(VALU_DEP_1) | instskip(NEXT) | instid1(VALU_DEP_1)
	v_mul_u64_e32 v[10:11], s[12:13], v[0:1]
	v_sub_nc_u32_e32 v3, v8, v11
	s_delay_alu instid0(VALU_DEP_2) | instskip(NEXT) | instid1(VALU_DEP_1)
	v_sub_co_u32 v2, vcc_lo, v2, v10
	v_sub_co_ci_u32_e64 v10, null, v8, v11, vcc_lo
	s_delay_alu instid0(VALU_DEP_3) | instskip(NEXT) | instid1(VALU_DEP_3)
	v_subrev_co_ci_u32_e64 v3, null, s13, v3, vcc_lo
	v_sub_co_u32 v7, s2, v2, s12
	s_delay_alu instid0(VALU_DEP_1) | instskip(NEXT) | instid1(VALU_DEP_2)
	v_subrev_co_ci_u32_e64 v3, null, 0, v3, s2
	v_cmp_le_u32_e32 vcc_lo, s12, v7
	v_cndmask_b32_e64 v7, 0, -1, vcc_lo
	s_delay_alu instid0(VALU_DEP_3)
	v_cmp_le_u32_e32 vcc_lo, s13, v3
	v_cndmask_b32_e64 v8, 0, -1, vcc_lo
	v_cmp_le_u32_e32 vcc_lo, s12, v2
	v_cndmask_b32_e64 v11, 0, -1, vcc_lo
	v_cmp_le_u32_e32 vcc_lo, s13, v10
	v_cndmask_b32_e64 v12, 0, -1, vcc_lo
	v_cmp_eq_u32_e32 vcc_lo, s13, v3
	v_add_nc_u64_e32 v[2:3], 2, v[0:1]
	v_cndmask_b32_e32 v7, v8, v7, vcc_lo
	v_cmp_eq_u32_e32 vcc_lo, s13, v10
	v_add_nc_u64_e32 v[8:9], 1, v[0:1]
	v_cndmask_b32_e32 v10, v12, v11, vcc_lo
	s_delay_alu instid0(VALU_DEP_4) | instskip(NEXT) | instid1(VALU_DEP_2)
	v_cmp_ne_u32_e32 vcc_lo, 0, v7
	v_cmp_ne_u32_e64 s2, 0, v10
	s_delay_alu instid0(VALU_DEP_4) | instskip(NEXT) | instid1(VALU_DEP_1)
	v_cndmask_b32_e32 v7, v8, v2, vcc_lo
	v_dual_cndmask_b32 v0, v0, v7, s2 :: v_dual_bitop2_b32 v2, s4, v6 bitop3:0x14
	s_delay_alu instid0(VALU_DEP_1) | instskip(NEXT) | instid1(VALU_DEP_1)
	v_dual_cndmask_b32 v3, v9, v3, vcc_lo :: v_dual_bitop2_b32 v0, v0, v2 bitop3:0x14
	v_dual_cndmask_b32 v1, v1, v3, s2 :: v_dual_mov_b32 v3, v2
	s_delay_alu instid0(VALU_DEP_1) | instskip(NEXT) | instid1(VALU_DEP_1)
	v_xor_b32_e32 v1, v1, v2
	v_sub_nc_u64_e32 v[8:9], v[0:1], v[2:3]
.LBB0_3:
	s_and_not1_saveexec_b32 s2, s14
	s_cbranch_execz .LBB0_5
; %bb.4:
	v_cvt_f32_u32_e32 v0, s8
	s_sub_co_i32 s4, 0, s8
	v_mov_b32_e32 v9, 0
	s_delay_alu instid0(VALU_DEP_2) | instskip(SKIP_1) | instid1(TRANS32_DEP_1)
	v_rcp_iflag_f32_e32 v0, v0
	v_nop
	v_mul_f32_e32 v0, 0x4f7ffffe, v0
	s_delay_alu instid0(VALU_DEP_1) | instskip(NEXT) | instid1(VALU_DEP_1)
	v_cvt_u32_f32_e32 v0, v0
	v_mul_lo_u32 v1, s4, v0
	s_delay_alu instid0(VALU_DEP_1) | instskip(NEXT) | instid1(VALU_DEP_1)
	v_mul_hi_u32 v1, v0, v1
	v_add_nc_u32_e32 v0, v0, v1
	s_delay_alu instid0(VALU_DEP_1) | instskip(NEXT) | instid1(VALU_DEP_1)
	v_mul_hi_u32 v0, v4, v0
	v_mul_lo_u32 v1, v0, s8
	s_delay_alu instid0(VALU_DEP_1) | instskip(NEXT) | instid1(VALU_DEP_1)
	v_dual_add_nc_u32 v2, 1, v0 :: v_dual_sub_nc_u32 v1, v4, v1
	v_subrev_nc_u32_e32 v3, s8, v1
	v_cmp_le_u32_e32 vcc_lo, s8, v1
	s_delay_alu instid0(VALU_DEP_2) | instskip(NEXT) | instid1(VALU_DEP_1)
	v_dual_cndmask_b32 v1, v1, v3 :: v_dual_cndmask_b32 v0, v0, v2
	v_cmp_le_u32_e32 vcc_lo, s8, v1
	s_delay_alu instid0(VALU_DEP_2) | instskip(NEXT) | instid1(VALU_DEP_1)
	v_add_nc_u32_e32 v2, 1, v0
	v_cndmask_b32_e32 v8, v0, v2, vcc_lo
.LBB0_5:
	s_or_b32 exec_lo, exec_lo, s2
	s_delay_alu instid0(VALU_DEP_1) | instskip(SKIP_1) | instid1(VALU_DEP_1)
	v_dual_mov_b32 v2, 0 :: v_dual_bitop2_b32 v3, s7, v9 bitop3:0x54
                                        ; implicit-def: $vgpr0_vgpr1
	s_mov_b32 s2, exec_lo
	v_cmpx_ne_u64_e32 0, v[2:3]
	s_xor_b32 s12, exec_lo, s2
	s_cbranch_execz .LBB0_7
; %bb.6:
	s_ashr_i32 s4, s7, 31
	s_mov_b32 s21, 0
	s_mov_b32 s5, s4
	v_dual_mov_b32 v13, v2 :: v_dual_ashrrev_i32 v0, 31, v9
	s_add_nc_u64 s[14:15], s[6:7], s[4:5]
	v_dual_mov_b32 v21, v2 :: v_dual_mov_b32 v3, v2
	s_xor_b64 s[4:5], s[14:15], s[4:5]
	s_delay_alu instid0(VALU_DEP_2) | instskip(SKIP_3) | instid1(VALU_DEP_1)
	v_mov_b32_e32 v1, v0
	s_cvt_f32_u32 s2, s4
	s_cvt_f32_u32 s7, s5
	s_sub_nc_u64 s[16:17], 0, s[4:5]
	v_add_nc_u64_e32 v[10:11], v[8:9], v[0:1]
	s_delay_alu instid0(SALU_CYCLE_1) | instskip(SKIP_1) | instid1(SALU_CYCLE_2)
	s_fmamk_f32 s2, s7, 0x4f800000, s2
	v_mov_b32_e32 v15, v2
	v_s_rcp_f32 s2, s2
	s_delay_alu instid0(VALU_DEP_2) | instskip(NEXT) | instid1(VALU_DEP_3)
	v_xor_b32_e32 v12, v10, v0
	v_xor_b32_e32 v14, v11, v0
	s_delay_alu instid0(TRANS32_DEP_1) | instskip(NEXT) | instid1(SALU_CYCLE_3)
	s_mul_f32 s2, s2, 0x5f7ffffc
	s_mul_f32 s7, s2, 0x2f800000
	s_delay_alu instid0(SALU_CYCLE_3) | instskip(NEXT) | instid1(SALU_CYCLE_3)
	s_trunc_f32 s7, s7
	s_fmamk_f32 s2, s7, 0xcf800000, s2
	s_cvt_u32_f32 s15, s7
	s_delay_alu instid0(SALU_CYCLE_2) | instskip(NEXT) | instid1(SALU_CYCLE_3)
	s_cvt_u32_f32 s14, s2
	s_mul_u64 s[18:19], s[16:17], s[14:15]
	s_delay_alu instid0(SALU_CYCLE_1)
	s_mul_hi_u32 s23, s14, s19
	s_mul_i32 s22, s14, s19
	s_mul_hi_u32 s20, s14, s18
	s_mul_i32 s7, s15, s18
	s_add_nc_u64 s[22:23], s[20:21], s[22:23]
	s_mul_hi_u32 s2, s15, s18
	s_mul_hi_u32 s13, s15, s19
	s_add_co_u32 s7, s22, s7
	s_add_co_ci_u32 s20, s23, s2
	s_mul_i32 s18, s15, s19
	s_add_co_ci_u32 s19, s13, 0
	s_delay_alu instid0(SALU_CYCLE_1) | instskip(NEXT) | instid1(SALU_CYCLE_1)
	s_add_nc_u64 s[18:19], s[20:21], s[18:19]
	s_add_co_u32 s14, s14, s18
	s_cselect_b32 s2, -1, 0
	s_delay_alu instid0(SALU_CYCLE_1) | instskip(SKIP_1) | instid1(SALU_CYCLE_1)
	s_cmp_lg_u32 s2, 0
	s_add_co_ci_u32 s15, s15, s19
	s_mul_u64 s[16:17], s[16:17], s[14:15]
	s_delay_alu instid0(SALU_CYCLE_1)
	s_mul_hi_u32 s19, s14, s17
	s_mul_i32 s18, s14, s17
	s_mul_hi_u32 s20, s14, s16
	s_mul_i32 s7, s15, s16
	s_add_nc_u64 s[18:19], s[20:21], s[18:19]
	s_mul_hi_u32 s2, s15, s16
	s_mul_hi_u32 s13, s15, s17
	s_add_co_u32 s7, s18, s7
	s_add_co_ci_u32 s20, s19, s2
	s_mul_i32 s16, s15, s17
	s_add_co_ci_u32 s17, s13, 0
	s_delay_alu instid0(SALU_CYCLE_1) | instskip(NEXT) | instid1(SALU_CYCLE_1)
	s_add_nc_u64 s[16:17], s[20:21], s[16:17]
	s_add_co_u32 s2, s14, s16
	s_cselect_b32 s7, -1, 0
	v_mul_hi_u32 v20, v12, s2
	s_cmp_lg_u32 s7, 0
	s_add_co_ci_u32 s20, s15, s17
	s_mov_b64 s[14:15], 0xffffffff
	v_mul_u64_e32 v[16:17], s[20:21], v[12:13]
	s_and_b64 s[14:15], s[2:3], s[14:15]
	v_mul_u64_e32 v[18:19], s[20:21], v[14:15]
	v_mul_u64_e32 v[10:11], s[14:15], v[14:15]
	s_delay_alu instid0(VALU_DEP_3) | instskip(NEXT) | instid1(VALU_DEP_1)
	v_add_nc_u64_e32 v[16:17], v[20:21], v[16:17]
	v_add_co_u32 v2, vcc_lo, v16, v10
	s_delay_alu instid0(VALU_DEP_2) | instskip(SKIP_1) | instid1(VALU_DEP_1)
	v_add_co_ci_u32_e32 v2, vcc_lo, v17, v11, vcc_lo
	v_add_co_ci_u32_e32 v19, vcc_lo, 0, v19, vcc_lo
	v_add_nc_u64_e32 v[2:3], v[2:3], v[18:19]
	s_delay_alu instid0(VALU_DEP_1) | instskip(NEXT) | instid1(VALU_DEP_1)
	v_mul_u64_e32 v[2:3], s[4:5], v[2:3]
	v_sub_nc_u32_e32 v7, v14, v3
	s_delay_alu instid0(VALU_DEP_2) | instskip(NEXT) | instid1(VALU_DEP_1)
	v_sub_co_u32 v2, vcc_lo, v12, v2
	v_sub_co_ci_u32_e64 v3, null, v14, v3, vcc_lo
	s_delay_alu instid0(VALU_DEP_3) | instskip(NEXT) | instid1(VALU_DEP_3)
	v_subrev_co_ci_u32_e64 v7, null, s5, v7, vcc_lo
	v_sub_co_u32 v10, vcc_lo, v2, s4
	v_cmp_le_u32_e64 s2, s4, v2
	s_delay_alu instid0(VALU_DEP_3) | instskip(SKIP_1) | instid1(VALU_DEP_3)
	v_subrev_co_ci_u32_e64 v11, null, 0, v7, vcc_lo
	v_subrev_co_ci_u32_e64 v7, null, s5, v7, vcc_lo
	v_cndmask_b32_e64 v12, 0, -1, s2
	v_cmp_le_u32_e64 s2, s4, v10
	v_cmp_le_u32_e32 vcc_lo, s5, v3
	s_delay_alu instid0(VALU_DEP_2) | instskip(SKIP_3) | instid1(VALU_DEP_3)
	v_cndmask_b32_e64 v13, 0, -1, s2
	v_cmp_le_u32_e64 s2, s5, v11
	v_cndmask_b32_e64 v15, 0, -1, vcc_lo
	v_cmp_eq_u32_e32 vcc_lo, s5, v11
	v_cndmask_b32_e64 v14, 0, -1, s2
	v_cmp_eq_u32_e64 s2, s5, v3
	s_delay_alu instid0(VALU_DEP_2) | instskip(SKIP_1) | instid1(VALU_DEP_1)
	v_cndmask_b32_e32 v13, v14, v13, vcc_lo
	v_sub_co_u32 v14, vcc_lo, v10, s4
	v_subrev_co_ci_u32_e64 v7, null, 0, v7, vcc_lo
	s_delay_alu instid0(VALU_DEP_3) | instskip(NEXT) | instid1(VALU_DEP_3)
	v_cmp_ne_u32_e32 vcc_lo, 0, v13
	v_dual_cndmask_b32 v12, v15, v12, s2 :: v_dual_cndmask_b32 v10, v10, v14, vcc_lo
	s_delay_alu instid0(VALU_DEP_3) | instskip(NEXT) | instid1(VALU_DEP_2)
	v_cndmask_b32_e32 v7, v11, v7, vcc_lo
	v_cmp_ne_u32_e32 vcc_lo, 0, v12
	s_delay_alu instid0(VALU_DEP_2) | instskip(NEXT) | instid1(VALU_DEP_1)
	v_dual_cndmask_b32 v2, v2, v10 :: v_dual_cndmask_b32 v3, v3, v7
	v_xor_b32_e32 v2, v2, v0
	s_delay_alu instid0(VALU_DEP_2) | instskip(NEXT) | instid1(VALU_DEP_1)
	v_xor_b32_e32 v3, v3, v0
	v_sub_nc_u64_e32 v[0:1], v[2:3], v[0:1]
.LBB0_7:
	s_and_not1_saveexec_b32 s2, s12
	s_cbranch_execz .LBB0_9
; %bb.8:
	v_cvt_f32_u32_e32 v0, s6
	s_sub_co_i32 s4, 0, s6
	s_delay_alu instid0(VALU_DEP_1) | instskip(SKIP_1) | instid1(TRANS32_DEP_1)
	v_rcp_iflag_f32_e32 v0, v0
	v_nop
	v_mul_f32_e32 v0, 0x4f7ffffe, v0
	s_delay_alu instid0(VALU_DEP_1) | instskip(NEXT) | instid1(VALU_DEP_1)
	v_cvt_u32_f32_e32 v0, v0
	v_mul_lo_u32 v1, s4, v0
	s_delay_alu instid0(VALU_DEP_1) | instskip(NEXT) | instid1(VALU_DEP_1)
	v_mul_hi_u32 v1, v0, v1
	v_add_nc_u32_e32 v0, v0, v1
	s_delay_alu instid0(VALU_DEP_1) | instskip(NEXT) | instid1(VALU_DEP_1)
	v_mul_hi_u32 v0, v8, v0
	v_mul_lo_u32 v0, v0, s6
	s_delay_alu instid0(VALU_DEP_1) | instskip(NEXT) | instid1(VALU_DEP_1)
	v_sub_nc_u32_e32 v0, v8, v0
	v_subrev_nc_u32_e32 v1, s6, v0
	v_cmp_le_u32_e32 vcc_lo, s6, v0
	s_delay_alu instid0(VALU_DEP_2) | instskip(NEXT) | instid1(VALU_DEP_1)
	v_cndmask_b32_e32 v0, v0, v1, vcc_lo
	v_subrev_nc_u32_e32 v1, s6, v0
	v_cmp_le_u32_e32 vcc_lo, s6, v0
	s_delay_alu instid0(VALU_DEP_2)
	v_dual_cndmask_b32 v0, v0, v1 :: v_dual_mov_b32 v1, 0
.LBB0_9:
	s_or_b32 exec_lo, exec_lo, s2
	v_dual_mov_b32 v10, 0 :: v_dual_bitop2_b32 v11, s11, v5 bitop3:0x54
                                        ; implicit-def: $vgpr2_vgpr3
	s_mov_b32 s2, exec_lo
	s_delay_alu instid0(VALU_DEP_1)
	v_cmpx_ne_u64_e32 0, v[10:11]
	s_xor_b32 s12, exec_lo, s2
	s_cbranch_execz .LBB0_11
; %bb.10:
	s_ashr_i32 s4, s11, 31
	s_mov_b32 s21, 0
	s_mov_b32 s5, s4
	v_dual_mov_b32 v7, v6 :: v_dual_mov_b32 v13, v10
	s_add_nc_u64 s[6:7], s[10:11], s[4:5]
	v_dual_mov_b32 v21, v10 :: v_dual_mov_b32 v11, v10
	s_xor_b64 s[6:7], s[6:7], s[4:5]
	s_delay_alu instid0(VALU_DEP_2) | instskip(SKIP_4) | instid1(SALU_CYCLE_1)
	v_add_nc_u64_e32 v[2:3], v[4:5], v[6:7]
	s_cvt_f32_u32 s2, s6
	s_cvt_f32_u32 s5, s7
	s_sub_nc_u64 s[16:17], 0, s[6:7]
	v_mov_b32_e32 v15, v10
	s_fmamk_f32 s2, s5, 0x4f800000, s2
	s_delay_alu instid0(VALU_DEP_2) | instskip(SKIP_3) | instid1(TRANS32_DEP_1)
	v_xor_b32_e32 v12, v2, v6
	v_xor_b32_e32 v14, v3, v6
	;; [unrolled: 1-line block ×3, first 2 shown]
	v_s_rcp_f32 s2, s2
	s_mul_f32 s2, s2, 0x5f7ffffc
	s_delay_alu instid0(SALU_CYCLE_3) | instskip(NEXT) | instid1(SALU_CYCLE_3)
	s_mul_f32 s5, s2, 0x2f800000
	s_trunc_f32 s5, s5
	s_delay_alu instid0(SALU_CYCLE_3) | instskip(SKIP_1) | instid1(SALU_CYCLE_2)
	s_fmamk_f32 s2, s5, 0xcf800000, s2
	s_cvt_u32_f32 s15, s5
	s_cvt_u32_f32 s14, s2
	s_delay_alu instid0(SALU_CYCLE_3) | instskip(NEXT) | instid1(SALU_CYCLE_1)
	s_mul_u64 s[18:19], s[16:17], s[14:15]
	s_mul_hi_u32 s23, s14, s19
	s_mul_i32 s22, s14, s19
	s_mul_hi_u32 s20, s14, s18
	s_mul_i32 s5, s15, s18
	s_add_nc_u64 s[22:23], s[20:21], s[22:23]
	s_mul_hi_u32 s2, s15, s18
	s_mul_hi_u32 s11, s15, s19
	s_add_co_u32 s5, s22, s5
	s_add_co_ci_u32 s20, s23, s2
	s_mul_i32 s18, s15, s19
	s_add_co_ci_u32 s19, s11, 0
	s_delay_alu instid0(SALU_CYCLE_1) | instskip(NEXT) | instid1(SALU_CYCLE_1)
	s_add_nc_u64 s[18:19], s[20:21], s[18:19]
	s_add_co_u32 s14, s14, s18
	s_cselect_b32 s2, -1, 0
	s_delay_alu instid0(SALU_CYCLE_1) | instskip(SKIP_1) | instid1(SALU_CYCLE_1)
	s_cmp_lg_u32 s2, 0
	s_add_co_ci_u32 s15, s15, s19
	s_mul_u64 s[16:17], s[16:17], s[14:15]
	s_delay_alu instid0(SALU_CYCLE_1)
	s_mul_hi_u32 s19, s14, s17
	s_mul_i32 s18, s14, s17
	s_mul_hi_u32 s20, s14, s16
	s_mul_i32 s5, s15, s16
	s_add_nc_u64 s[18:19], s[20:21], s[18:19]
	s_mul_hi_u32 s2, s15, s16
	s_mul_hi_u32 s11, s15, s17
	s_add_co_u32 s5, s18, s5
	s_add_co_ci_u32 s20, s19, s2
	s_mul_i32 s16, s15, s17
	s_add_co_ci_u32 s17, s11, 0
	s_delay_alu instid0(SALU_CYCLE_1) | instskip(NEXT) | instid1(SALU_CYCLE_1)
	s_add_nc_u64 s[16:17], s[20:21], s[16:17]
	s_add_co_u32 s2, s14, s16
	s_cselect_b32 s5, -1, 0
	v_nop
	v_mul_hi_u32 v20, v12, s2
	s_cmp_lg_u32 s5, 0
	s_add_co_ci_u32 s20, s15, s17
	s_mov_b64 s[14:15], 0xffffffff
	v_mul_u64_e32 v[16:17], s[20:21], v[12:13]
	s_and_b64 s[14:15], s[2:3], s[14:15]
	v_mul_u64_e32 v[18:19], s[20:21], v[14:15]
	v_mul_u64_e32 v[2:3], s[14:15], v[14:15]
	s_delay_alu instid0(VALU_DEP_3) | instskip(NEXT) | instid1(VALU_DEP_1)
	v_add_nc_u64_e32 v[16:17], v[20:21], v[16:17]
	v_add_co_u32 v2, vcc_lo, v16, v2
	s_delay_alu instid0(VALU_DEP_2) | instskip(SKIP_1) | instid1(VALU_DEP_1)
	v_add_co_ci_u32_e32 v10, vcc_lo, v17, v3, vcc_lo
	v_add_co_ci_u32_e32 v19, vcc_lo, 0, v19, vcc_lo
	v_add_nc_u64_e32 v[2:3], v[10:11], v[18:19]
	s_delay_alu instid0(VALU_DEP_1) | instskip(NEXT) | instid1(VALU_DEP_1)
	v_mul_u64_e32 v[10:11], s[6:7], v[2:3]
	v_sub_nc_u32_e32 v7, v14, v11
	s_delay_alu instid0(VALU_DEP_2) | instskip(NEXT) | instid1(VALU_DEP_1)
	v_sub_co_u32 v10, vcc_lo, v12, v10
	v_sub_co_ci_u32_e64 v14, null, v14, v11, vcc_lo
	s_delay_alu instid0(VALU_DEP_3) | instskip(NEXT) | instid1(VALU_DEP_3)
	v_subrev_co_ci_u32_e64 v7, null, s7, v7, vcc_lo
	v_sub_co_u32 v12, s2, v10, s6
	s_delay_alu instid0(VALU_DEP_1) | instskip(NEXT) | instid1(VALU_DEP_2)
	v_subrev_co_ci_u32_e64 v7, null, 0, v7, s2
	v_cmp_le_u32_e32 vcc_lo, s6, v12
	v_cndmask_b32_e64 v11, 0, -1, vcc_lo
	s_delay_alu instid0(VALU_DEP_3)
	v_cmp_le_u32_e32 vcc_lo, s7, v7
	v_cndmask_b32_e64 v12, 0, -1, vcc_lo
	v_cmp_le_u32_e32 vcc_lo, s6, v10
	v_cndmask_b32_e64 v15, 0, -1, vcc_lo
	v_cmp_le_u32_e32 vcc_lo, s7, v14
	v_cndmask_b32_e64 v16, 0, -1, vcc_lo
	v_cmp_eq_u32_e32 vcc_lo, s7, v7
	v_cndmask_b32_e32 v7, v12, v11, vcc_lo
	v_cmp_eq_u32_e32 vcc_lo, s7, v14
	v_add_nc_u64_e32 v[10:11], 2, v[2:3]
	v_add_nc_u64_e32 v[12:13], 1, v[2:3]
	v_cndmask_b32_e32 v14, v16, v15, vcc_lo
	v_cmp_ne_u32_e32 vcc_lo, 0, v7
	s_delay_alu instid0(VALU_DEP_2) | instskip(NEXT) | instid1(VALU_DEP_4)
	v_cmp_ne_u32_e64 s2, 0, v14
	v_dual_cndmask_b32 v10, v12, v10 :: v_dual_cndmask_b32 v7, v13, v11
	s_delay_alu instid0(VALU_DEP_1) | instskip(SKIP_1) | instid1(VALU_DEP_2)
	v_dual_cndmask_b32 v2, v2, v10, s2 :: v_dual_cndmask_b32 v3, v3, v7, s2
	v_mov_b32_e32 v7, v6
	v_xor_b32_e32 v2, v2, v6
	s_delay_alu instid0(VALU_DEP_3) | instskip(NEXT) | instid1(VALU_DEP_1)
	v_xor_b32_e32 v3, v3, v6
	v_sub_nc_u64_e32 v[2:3], v[2:3], v[6:7]
.LBB0_11:
	s_and_not1_saveexec_b32 s2, s12
	s_cbranch_execz .LBB0_13
; %bb.12:
	v_cvt_f32_u32_e32 v2, s10
	s_sub_co_i32 s4, 0, s10
	s_delay_alu instid0(VALU_DEP_1) | instskip(SKIP_1) | instid1(TRANS32_DEP_1)
	v_rcp_iflag_f32_e32 v2, v2
	v_nop
	v_mul_f32_e32 v2, 0x4f7ffffe, v2
	s_delay_alu instid0(VALU_DEP_1) | instskip(NEXT) | instid1(VALU_DEP_1)
	v_cvt_u32_f32_e32 v2, v2
	v_mul_lo_u32 v3, s4, v2
	s_delay_alu instid0(VALU_DEP_1) | instskip(NEXT) | instid1(VALU_DEP_1)
	v_mul_hi_u32 v3, v2, v3
	v_add_nc_u32_e32 v2, v2, v3
	s_delay_alu instid0(VALU_DEP_1) | instskip(NEXT) | instid1(VALU_DEP_1)
	v_mul_hi_u32 v2, v4, v2
	v_mul_lo_u32 v3, v2, s10
	s_delay_alu instid0(VALU_DEP_1) | instskip(NEXT) | instid1(VALU_DEP_1)
	v_sub_nc_u32_e32 v3, v4, v3
	v_subrev_nc_u32_e32 v7, s10, v3
	v_cmp_le_u32_e32 vcc_lo, s10, v3
	s_delay_alu instid0(VALU_DEP_2) | instskip(NEXT) | instid1(VALU_DEP_1)
	v_dual_cndmask_b32 v3, v3, v7 :: v_dual_add_nc_u32 v6, 1, v2
	v_cndmask_b32_e32 v2, v2, v6, vcc_lo
	s_delay_alu instid0(VALU_DEP_2) | instskip(NEXT) | instid1(VALU_DEP_2)
	v_cmp_le_u32_e32 vcc_lo, s10, v3
	v_dual_mov_b32 v3, 0 :: v_dual_add_nc_u32 v6, 1, v2
	s_delay_alu instid0(VALU_DEP_1)
	v_cndmask_b32_e32 v2, v2, v6, vcc_lo
.LBB0_13:
	s_or_b32 exec_lo, exec_lo, s2
	v_mul_u64_e32 v[6:7], s[8:9], v[8:9]
	s_clause 0x2
	s_load_b256 s[4:11], s[0:1], 0xe0
	s_load_b64 s[12:13], s[0:1], 0x100
	s_load_b64 s[14:15], s[0:1], 0xb0
	s_lshr_b32 s2, ttmp7, 16
	s_wait_kmcnt 0x0
	v_mul_u64_e32 v[8:9], s[8:9], v[2:3]
	s_bfe_u32 s8, ttmp6, 0x40014
	s_bfe_u32 s9, ttmp6, 0x40010
	s_add_co_i32 s8, s8, 1
	s_add_co_i32 s9, s9, 1
	s_mul_i32 s8, s2, s8
	s_delay_alu instid0(VALU_DEP_2) | instskip(SKIP_4) | instid1(VALU_DEP_2)
	v_sub_nc_u64_e32 v[4:5], v[4:5], v[6:7]
	v_mul_u64_e32 v[6:7], s[10:11], v[0:1]
	s_bfe_u32 s10, ttmp6, 0x40008
	s_bfe_u32 s11, ttmp6, 0x40004
	s_add_co_i32 s10, s10, s8
	v_mul_u64_e32 v[10:11], s[12:13], v[4:5]
	s_and_b32 s12, ttmp7, 0xffff
	s_delay_alu instid0(SALU_CYCLE_1) | instskip(NEXT) | instid1(SALU_CYCLE_1)
	s_mul_i32 s9, s12, s9
	s_add_co_i32 s8, s11, s9
	s_cmp_eq_u32 s3, 0
	s_mov_b32 s9, 0
	s_cselect_b32 s10, s2, s10
	s_mov_b32 s11, s9
	s_cselect_b32 s8, s12, s8
	s_mul_u64 s[2:3], s[4:5], s[10:11]
	s_mul_u64 s[4:5], s[6:7], s[8:9]
	s_lshl_b64 s[2:3], s[2:3], 3
	s_lshl_b64 s[4:5], s[4:5], 3
	s_add_nc_u64 s[2:3], s[14:15], s[2:3]
	s_delay_alu instid0(SALU_CYCLE_1)
	s_add_nc_u64 s[2:3], s[2:3], s[4:5]
	s_delay_alu instid0(VALU_DEP_4) | instid1(SALU_CYCLE_1)
	v_lshl_add_u64 v[8:9], v[8:9], 3, s[2:3]
	s_mov_b32 s2, exec_lo
	s_delay_alu instid0(VALU_DEP_1) | instskip(NEXT) | instid1(VALU_DEP_1)
	v_lshl_add_u64 v[6:7], v[6:7], 3, v[8:9]
	v_lshl_add_u64 v[6:7], v[10:11], 3, v[6:7]
	global_load_b64 v[6:7], v[6:7], off
	s_wait_loadcnt 0x0
	v_cmpx_lt_i64_e32 -1, v[6:7]
	s_xor_b32 s3, exec_lo, s2
	s_cbranch_execz .LBB0_30
; %bb.14:
	s_load_b128 s[4:7], s[0:1], 0x20
                                        ; implicit-def: $vgpr8_vgpr9
	s_mov_b32 s2, exec_lo
	v_mov_b32_e32 v10, 0
	s_wait_kmcnt 0x0
	s_mul_u64 s[12:13], s[4:5], s[6:7]
	s_delay_alu instid0(SALU_CYCLE_1) | instskip(NEXT) | instid1(VALU_DEP_1)
	v_or_b32_e32 v11, s13, v7
	v_cmpx_ne_u64_e32 0, v[10:11]
	s_xor_b32 s18, exec_lo, s2
	s_cbranch_execz .LBB0_16
; %bb.15:
	s_ashr_i32 s14, s13, 31
	s_mov_b32 s27, 0
	s_mov_b32 s15, s14
	v_dual_mov_b32 v15, v10 :: v_dual_ashrrev_i32 v8, 31, v7
	s_add_nc_u64 s[16:17], s[12:13], s[14:15]
	v_mov_b32_e32 v17, v10
	s_xor_b64 s[16:17], s[16:17], s[14:15]
	s_delay_alu instid0(VALU_DEP_2)
	v_mov_b32_e32 v9, v8
	s_cvt_f32_u32 s2, s16
	s_cvt_f32_u32 s13, s17
	s_sub_nc_u64 s[22:23], 0, s[16:17]
	v_mov_b32_e32 v23, v10
	v_add_nc_u64_e32 v[12:13], v[6:7], v[8:9]
	s_fmamk_f32 s2, s13, 0x4f800000, s2
	v_mov_b32_e32 v11, v10
	s_delay_alu instid0(SALU_CYCLE_2) | instskip(NEXT) | instid1(VALU_DEP_2)
	v_s_rcp_f32 s2, s2
	v_xor_b32_e32 v14, v12, v8
	s_delay_alu instid0(VALU_DEP_3) | instskip(SKIP_1) | instid1(TRANS32_DEP_1)
	v_xor_b32_e32 v16, v13, v8
	v_xor_b32_e32 v8, s14, v8
	s_mul_f32 s2, s2, 0x5f7ffffc
	s_delay_alu instid0(SALU_CYCLE_3) | instskip(NEXT) | instid1(SALU_CYCLE_3)
	s_mul_f32 s13, s2, 0x2f800000
	s_trunc_f32 s13, s13
	s_delay_alu instid0(SALU_CYCLE_3) | instskip(SKIP_1) | instid1(SALU_CYCLE_2)
	s_fmamk_f32 s2, s13, 0xcf800000, s2
	s_cvt_u32_f32 s21, s13
	s_cvt_u32_f32 s20, s2
	s_delay_alu instid0(SALU_CYCLE_3) | instskip(NEXT) | instid1(SALU_CYCLE_1)
	s_mul_u64 s[24:25], s[22:23], s[20:21]
	s_mul_hi_u32 s29, s20, s25
	s_mul_i32 s28, s20, s25
	s_mul_hi_u32 s26, s20, s24
	s_mul_i32 s13, s21, s24
	s_add_nc_u64 s[28:29], s[26:27], s[28:29]
	s_mul_hi_u32 s2, s21, s24
	s_mul_hi_u32 s15, s21, s25
	s_add_co_u32 s13, s28, s13
	s_add_co_ci_u32 s26, s29, s2
	s_mul_i32 s24, s21, s25
	s_add_co_ci_u32 s25, s15, 0
	s_delay_alu instid0(SALU_CYCLE_1) | instskip(NEXT) | instid1(SALU_CYCLE_1)
	s_add_nc_u64 s[24:25], s[26:27], s[24:25]
	s_add_co_u32 s20, s20, s24
	s_cselect_b32 s2, -1, 0
	s_delay_alu instid0(SALU_CYCLE_1) | instskip(SKIP_1) | instid1(SALU_CYCLE_1)
	s_cmp_lg_u32 s2, 0
	s_add_co_ci_u32 s21, s21, s25
	s_mul_u64 s[22:23], s[22:23], s[20:21]
	s_delay_alu instid0(SALU_CYCLE_1)
	s_mul_hi_u32 s25, s20, s23
	s_mul_i32 s24, s20, s23
	s_mul_hi_u32 s26, s20, s22
	s_mul_i32 s13, s21, s22
	s_add_nc_u64 s[24:25], s[26:27], s[24:25]
	s_mul_hi_u32 s2, s21, s22
	s_mul_hi_u32 s15, s21, s23
	s_add_co_u32 s13, s24, s13
	s_add_co_ci_u32 s26, s25, s2
	s_mul_i32 s22, s21, s23
	s_add_co_ci_u32 s23, s15, 0
	s_delay_alu instid0(SALU_CYCLE_1) | instskip(NEXT) | instid1(SALU_CYCLE_1)
	s_add_nc_u64 s[22:23], s[26:27], s[22:23]
	s_add_co_u32 s2, s20, s22
	s_cselect_b32 s13, -1, 0
	v_mul_hi_u32 v22, v14, s2
	s_cmp_lg_u32 s13, 0
	s_add_co_ci_u32 s26, s21, s23
	s_mov_b64 s[20:21], 0xffffffff
	v_mul_u64_e32 v[18:19], s[26:27], v[14:15]
	s_and_b64 s[20:21], s[2:3], s[20:21]
	v_mul_u64_e32 v[20:21], s[26:27], v[16:17]
	v_mul_u64_e32 v[12:13], s[20:21], v[16:17]
	s_delay_alu instid0(VALU_DEP_3) | instskip(NEXT) | instid1(VALU_DEP_1)
	v_add_nc_u64_e32 v[18:19], v[22:23], v[18:19]
	v_add_co_u32 v9, vcc_lo, v18, v12
	s_delay_alu instid0(VALU_DEP_2) | instskip(SKIP_1) | instid1(VALU_DEP_1)
	v_add_co_ci_u32_e32 v10, vcc_lo, v19, v13, vcc_lo
	v_add_co_ci_u32_e32 v21, vcc_lo, 0, v21, vcc_lo
	v_add_nc_u64_e32 v[10:11], v[10:11], v[20:21]
	s_delay_alu instid0(VALU_DEP_1) | instskip(NEXT) | instid1(VALU_DEP_1)
	v_mul_u64_e32 v[12:13], s[16:17], v[10:11]
	v_sub_nc_u32_e32 v9, v16, v13
	s_delay_alu instid0(VALU_DEP_2) | instskip(NEXT) | instid1(VALU_DEP_1)
	v_sub_co_u32 v12, vcc_lo, v14, v12
	v_sub_co_ci_u32_e64 v16, null, v16, v13, vcc_lo
	s_delay_alu instid0(VALU_DEP_3) | instskip(NEXT) | instid1(VALU_DEP_3)
	v_subrev_co_ci_u32_e64 v9, null, s17, v9, vcc_lo
	v_sub_co_u32 v14, s2, v12, s16
	s_delay_alu instid0(VALU_DEP_1) | instskip(NEXT) | instid1(VALU_DEP_2)
	v_subrev_co_ci_u32_e64 v9, null, 0, v9, s2
	v_cmp_le_u32_e32 vcc_lo, s16, v14
	v_cndmask_b32_e64 v13, 0, -1, vcc_lo
	s_delay_alu instid0(VALU_DEP_3)
	v_cmp_le_u32_e32 vcc_lo, s17, v9
	v_cndmask_b32_e64 v14, 0, -1, vcc_lo
	v_cmp_le_u32_e32 vcc_lo, s16, v12
	v_cndmask_b32_e64 v17, 0, -1, vcc_lo
	;; [unrolled: 2-line block ×3, first 2 shown]
	v_cmp_eq_u32_e32 vcc_lo, s17, v9
	v_cndmask_b32_e32 v9, v14, v13, vcc_lo
	v_cmp_eq_u32_e32 vcc_lo, s17, v16
	v_add_nc_u64_e32 v[12:13], 2, v[10:11]
	v_add_nc_u64_e32 v[14:15], 1, v[10:11]
	v_cndmask_b32_e32 v16, v18, v17, vcc_lo
	v_cmp_ne_u32_e32 vcc_lo, 0, v9
	s_delay_alu instid0(VALU_DEP_2) | instskip(NEXT) | instid1(VALU_DEP_4)
	v_cmp_ne_u32_e64 s2, 0, v16
	v_dual_cndmask_b32 v12, v14, v12 :: v_dual_cndmask_b32 v9, v15, v13
	s_delay_alu instid0(VALU_DEP_1) | instskip(NEXT) | instid1(VALU_DEP_1)
	v_dual_cndmask_b32 v10, v10, v12, s2 :: v_dual_cndmask_b32 v11, v11, v9, s2
	v_dual_mov_b32 v9, v8 :: v_dual_bitop2_b32 v10, v10, v8 bitop3:0x14
	s_delay_alu instid0(VALU_DEP_2) | instskip(NEXT) | instid1(VALU_DEP_1)
	v_xor_b32_e32 v11, v11, v8
	v_sub_nc_u64_e32 v[8:9], v[10:11], v[8:9]
.LBB0_16:
	s_and_not1_saveexec_b32 s2, s18
	s_cbranch_execz .LBB0_18
; %bb.17:
	v_cvt_f32_u32_e32 v8, s12
	s_sub_co_i32 s13, 0, s12
	s_delay_alu instid0(VALU_DEP_1) | instskip(SKIP_1) | instid1(TRANS32_DEP_1)
	v_rcp_iflag_f32_e32 v8, v8
	v_nop
	v_mul_f32_e32 v8, 0x4f7ffffe, v8
	s_delay_alu instid0(VALU_DEP_1) | instskip(NEXT) | instid1(VALU_DEP_1)
	v_cvt_u32_f32_e32 v8, v8
	v_mul_lo_u32 v9, s13, v8
	s_delay_alu instid0(VALU_DEP_1) | instskip(NEXT) | instid1(VALU_DEP_1)
	v_mul_hi_u32 v9, v8, v9
	v_add_nc_u32_e32 v8, v8, v9
	s_delay_alu instid0(VALU_DEP_1) | instskip(NEXT) | instid1(VALU_DEP_1)
	v_mul_hi_u32 v8, v6, v8
	v_mul_lo_u32 v9, v8, s12
	s_delay_alu instid0(VALU_DEP_1) | instskip(NEXT) | instid1(VALU_DEP_1)
	v_dual_add_nc_u32 v10, 1, v8 :: v_dual_sub_nc_u32 v9, v6, v9
	v_subrev_nc_u32_e32 v11, s12, v9
	v_cmp_le_u32_e32 vcc_lo, s12, v9
	s_delay_alu instid0(VALU_DEP_2) | instskip(NEXT) | instid1(VALU_DEP_1)
	v_dual_cndmask_b32 v9, v9, v11 :: v_dual_cndmask_b32 v8, v8, v10
	v_cmp_le_u32_e32 vcc_lo, s12, v9
	s_delay_alu instid0(VALU_DEP_2) | instskip(NEXT) | instid1(VALU_DEP_1)
	v_dual_mov_b32 v9, 0 :: v_dual_add_nc_u32 v10, 1, v8
	v_cndmask_b32_e32 v8, v8, v10, vcc_lo
.LBB0_18:
	s_or_b32 exec_lo, exec_lo, s2
	s_load_b64 s[12:13], s[0:1], 0x18
	s_mov_b32 s16, 0
	s_mov_b32 s2, exec_lo
	s_wait_kmcnt 0x0
	v_cmpx_le_i64_e64 s[12:13], v[8:9]
	s_xor_b32 s2, exec_lo, s2
	s_cbranch_execnz .LBB0_35
; %bb.19:
	s_and_not1_saveexec_b32 s17, s2
	s_cbranch_execz .LBB0_29
.LBB0_20:
	v_dual_mov_b32 v12, 0 :: v_dual_bitop2_b32 v13, s7, v7 bitop3:0x54
                                        ; implicit-def: $vgpr10_vgpr11
	s_mov_b32 s2, exec_lo
	s_delay_alu instid0(VALU_DEP_1)
	v_cmpx_ne_u64_e32 0, v[12:13]
	s_xor_b32 s18, exec_lo, s2
	s_cbranch_execz .LBB0_22
; %bb.21:
	s_ashr_i32 s12, s7, 31
	s_mov_b32 s27, 0
	s_mov_b32 s13, s12
	v_dual_mov_b32 v17, v12 :: v_dual_ashrrev_i32 v10, 31, v7
	s_add_nc_u64 s[14:15], s[6:7], s[12:13]
	v_mov_b32_e32 v19, v12
	s_xor_b64 s[14:15], s[14:15], s[12:13]
	s_delay_alu instid0(VALU_DEP_2)
	v_mov_b32_e32 v11, v10
	s_cvt_f32_u32 s2, s14
	s_cvt_f32_u32 s13, s15
	s_sub_nc_u64 s[22:23], 0, s[14:15]
	v_mov_b32_e32 v25, v12
	v_add_nc_u64_e32 v[14:15], v[6:7], v[10:11]
	s_fmamk_f32 s2, s13, 0x4f800000, s2
	v_mov_b32_e32 v13, v12
	s_delay_alu instid0(SALU_CYCLE_2) | instskip(NEXT) | instid1(VALU_DEP_2)
	v_s_rcp_f32 s2, s2
	v_xor_b32_e32 v16, v14, v10
	s_delay_alu instid0(VALU_DEP_3) | instskip(SKIP_1) | instid1(TRANS32_DEP_1)
	v_xor_b32_e32 v18, v15, v10
	v_xor_b32_e32 v10, s12, v10
	s_mul_f32 s2, s2, 0x5f7ffffc
	s_delay_alu instid0(SALU_CYCLE_3) | instskip(NEXT) | instid1(SALU_CYCLE_3)
	s_mul_f32 s13, s2, 0x2f800000
	s_trunc_f32 s13, s13
	s_delay_alu instid0(SALU_CYCLE_3) | instskip(SKIP_1) | instid1(SALU_CYCLE_2)
	s_fmamk_f32 s2, s13, 0xcf800000, s2
	s_cvt_u32_f32 s21, s13
	s_cvt_u32_f32 s20, s2
	s_delay_alu instid0(SALU_CYCLE_3) | instskip(NEXT) | instid1(SALU_CYCLE_1)
	s_mul_u64 s[24:25], s[22:23], s[20:21]
	s_mul_hi_u32 s29, s20, s25
	s_mul_i32 s28, s20, s25
	s_mul_hi_u32 s26, s20, s24
	s_mul_i32 s13, s21, s24
	s_add_nc_u64 s[28:29], s[26:27], s[28:29]
	s_mul_hi_u32 s2, s21, s24
	s_mul_hi_u32 s19, s21, s25
	s_add_co_u32 s13, s28, s13
	s_add_co_ci_u32 s26, s29, s2
	s_mul_i32 s24, s21, s25
	s_add_co_ci_u32 s25, s19, 0
	s_delay_alu instid0(SALU_CYCLE_1) | instskip(NEXT) | instid1(SALU_CYCLE_1)
	s_add_nc_u64 s[24:25], s[26:27], s[24:25]
	s_add_co_u32 s20, s20, s24
	s_cselect_b32 s2, -1, 0
	s_delay_alu instid0(SALU_CYCLE_1) | instskip(SKIP_1) | instid1(SALU_CYCLE_1)
	s_cmp_lg_u32 s2, 0
	s_add_co_ci_u32 s21, s21, s25
	s_mul_u64 s[22:23], s[22:23], s[20:21]
	s_delay_alu instid0(SALU_CYCLE_1)
	s_mul_hi_u32 s25, s20, s23
	s_mul_i32 s24, s20, s23
	s_mul_hi_u32 s26, s20, s22
	s_mul_i32 s13, s21, s22
	s_add_nc_u64 s[24:25], s[26:27], s[24:25]
	s_mul_hi_u32 s2, s21, s22
	s_mul_hi_u32 s19, s21, s23
	s_add_co_u32 s13, s24, s13
	s_add_co_ci_u32 s26, s25, s2
	s_mul_i32 s22, s21, s23
	s_add_co_ci_u32 s23, s19, 0
	s_delay_alu instid0(SALU_CYCLE_1) | instskip(NEXT) | instid1(SALU_CYCLE_1)
	s_add_nc_u64 s[22:23], s[26:27], s[22:23]
	s_add_co_u32 s2, s20, s22
	s_cselect_b32 s13, -1, 0
	v_mul_hi_u32 v24, v16, s2
	s_cmp_lg_u32 s13, 0
	s_add_co_ci_u32 s26, s21, s23
	s_mov_b64 s[20:21], 0xffffffff
	v_mul_u64_e32 v[20:21], s[26:27], v[16:17]
	s_and_b64 s[20:21], s[2:3], s[20:21]
	v_mul_u64_e32 v[22:23], s[26:27], v[18:19]
	v_mul_u64_e32 v[14:15], s[20:21], v[18:19]
	s_delay_alu instid0(VALU_DEP_3) | instskip(NEXT) | instid1(VALU_DEP_1)
	v_add_nc_u64_e32 v[20:21], v[24:25], v[20:21]
	v_add_co_u32 v11, vcc_lo, v20, v14
	s_delay_alu instid0(VALU_DEP_2) | instskip(SKIP_1) | instid1(VALU_DEP_1)
	v_add_co_ci_u32_e32 v12, vcc_lo, v21, v15, vcc_lo
	v_add_co_ci_u32_e32 v23, vcc_lo, 0, v23, vcc_lo
	v_add_nc_u64_e32 v[12:13], v[12:13], v[22:23]
	s_delay_alu instid0(VALU_DEP_1) | instskip(NEXT) | instid1(VALU_DEP_1)
	v_mul_u64_e32 v[14:15], s[14:15], v[12:13]
	v_sub_nc_u32_e32 v11, v18, v15
	s_delay_alu instid0(VALU_DEP_2) | instskip(NEXT) | instid1(VALU_DEP_1)
	v_sub_co_u32 v14, vcc_lo, v16, v14
	v_sub_co_ci_u32_e64 v18, null, v18, v15, vcc_lo
	s_delay_alu instid0(VALU_DEP_3) | instskip(NEXT) | instid1(VALU_DEP_3)
	v_subrev_co_ci_u32_e64 v11, null, s15, v11, vcc_lo
	v_sub_co_u32 v16, s2, v14, s14
	s_delay_alu instid0(VALU_DEP_1) | instskip(NEXT) | instid1(VALU_DEP_2)
	v_subrev_co_ci_u32_e64 v11, null, 0, v11, s2
	v_cmp_le_u32_e32 vcc_lo, s14, v16
	v_cndmask_b32_e64 v15, 0, -1, vcc_lo
	s_delay_alu instid0(VALU_DEP_3)
	v_cmp_le_u32_e32 vcc_lo, s15, v11
	v_cndmask_b32_e64 v16, 0, -1, vcc_lo
	v_cmp_le_u32_e32 vcc_lo, s14, v14
	v_cndmask_b32_e64 v19, 0, -1, vcc_lo
	;; [unrolled: 2-line block ×3, first 2 shown]
	v_cmp_eq_u32_e32 vcc_lo, s15, v11
	v_cndmask_b32_e32 v11, v16, v15, vcc_lo
	v_cmp_eq_u32_e32 vcc_lo, s15, v18
	v_add_nc_u64_e32 v[14:15], 2, v[12:13]
	v_add_nc_u64_e32 v[16:17], 1, v[12:13]
	v_cndmask_b32_e32 v18, v20, v19, vcc_lo
	v_cmp_ne_u32_e32 vcc_lo, 0, v11
	s_delay_alu instid0(VALU_DEP_2) | instskip(NEXT) | instid1(VALU_DEP_4)
	v_cmp_ne_u32_e64 s2, 0, v18
	v_dual_cndmask_b32 v14, v16, v14 :: v_dual_cndmask_b32 v11, v17, v15
	s_delay_alu instid0(VALU_DEP_1) | instskip(NEXT) | instid1(VALU_DEP_1)
	v_dual_cndmask_b32 v12, v12, v14, s2 :: v_dual_cndmask_b32 v13, v13, v11, s2
	v_dual_mov_b32 v11, v10 :: v_dual_bitop2_b32 v12, v12, v10 bitop3:0x14
	s_delay_alu instid0(VALU_DEP_2) | instskip(NEXT) | instid1(VALU_DEP_1)
	v_xor_b32_e32 v13, v13, v10
	v_sub_nc_u64_e32 v[10:11], v[12:13], v[10:11]
.LBB0_22:
	s_and_not1_saveexec_b32 s2, s18
	s_cbranch_execz .LBB0_24
; %bb.23:
	v_cvt_f32_u32_e32 v10, s6
	s_sub_co_i32 s12, 0, s6
	s_delay_alu instid0(VALU_DEP_1) | instskip(SKIP_1) | instid1(TRANS32_DEP_1)
	v_rcp_iflag_f32_e32 v10, v10
	v_nop
	v_mul_f32_e32 v10, 0x4f7ffffe, v10
	s_delay_alu instid0(VALU_DEP_1) | instskip(NEXT) | instid1(VALU_DEP_1)
	v_cvt_u32_f32_e32 v10, v10
	v_mul_lo_u32 v11, s12, v10
	s_delay_alu instid0(VALU_DEP_1) | instskip(NEXT) | instid1(VALU_DEP_1)
	v_mul_hi_u32 v11, v10, v11
	v_add_nc_u32_e32 v10, v10, v11
	s_delay_alu instid0(VALU_DEP_1) | instskip(NEXT) | instid1(VALU_DEP_1)
	v_mul_hi_u32 v10, v6, v10
	v_mul_lo_u32 v11, v10, s6
	s_delay_alu instid0(VALU_DEP_1) | instskip(NEXT) | instid1(VALU_DEP_1)
	v_dual_add_nc_u32 v12, 1, v10 :: v_dual_sub_nc_u32 v11, v6, v11
	v_subrev_nc_u32_e32 v13, s6, v11
	v_cmp_le_u32_e32 vcc_lo, s6, v11
	s_delay_alu instid0(VALU_DEP_2) | instskip(NEXT) | instid1(VALU_DEP_1)
	v_dual_cndmask_b32 v11, v11, v13 :: v_dual_cndmask_b32 v10, v10, v12
	v_cmp_le_u32_e32 vcc_lo, s6, v11
	s_delay_alu instid0(VALU_DEP_2) | instskip(NEXT) | instid1(VALU_DEP_1)
	v_dual_mov_b32 v11, 0 :: v_dual_add_nc_u32 v12, 1, v10
	v_cndmask_b32_e32 v10, v10, v12, vcc_lo
.LBB0_24:
	s_or_b32 exec_lo, exec_lo, s2
	s_delay_alu instid0(VALU_DEP_1) | instskip(SKIP_1) | instid1(VALU_DEP_1)
	v_dual_mov_b32 v12, 0 :: v_dual_bitop2_b32 v13, s5, v11 bitop3:0x54
                                        ; implicit-def: $vgpr14_vgpr15
	s_mov_b32 s2, exec_lo
	v_cmpx_ne_u64_e32 0, v[12:13]
	s_xor_b32 s14, exec_lo, s2
	s_cbranch_execz .LBB0_26
; %bb.25:
	s_ashr_i32 s12, s5, 31
	s_mov_b32 s25, 0
	s_mov_b32 s13, s12
	v_dual_mov_b32 v19, v12 :: v_dual_ashrrev_i32 v14, 31, v11
	s_add_nc_u64 s[18:19], s[4:5], s[12:13]
	v_dual_mov_b32 v27, v12 :: v_dual_mov_b32 v13, v12
	s_xor_b64 s[12:13], s[18:19], s[12:13]
	s_delay_alu instid0(VALU_DEP_2) | instskip(SKIP_3) | instid1(VALU_DEP_1)
	v_mov_b32_e32 v15, v14
	s_cvt_f32_u32 s2, s12
	s_cvt_f32_u32 s5, s13
	s_sub_nc_u64 s[20:21], 0, s[12:13]
	v_add_nc_u64_e32 v[16:17], v[10:11], v[14:15]
	s_delay_alu instid0(SALU_CYCLE_1) | instskip(SKIP_1) | instid1(SALU_CYCLE_2)
	s_fmamk_f32 s2, s5, 0x4f800000, s2
	v_mov_b32_e32 v21, v12
	v_s_rcp_f32 s2, s2
	s_delay_alu instid0(VALU_DEP_2) | instskip(NEXT) | instid1(VALU_DEP_3)
	v_xor_b32_e32 v18, v16, v14
	v_xor_b32_e32 v20, v17, v14
	s_delay_alu instid0(TRANS32_DEP_1) | instskip(NEXT) | instid1(SALU_CYCLE_3)
	s_mul_f32 s2, s2, 0x5f7ffffc
	s_mul_f32 s5, s2, 0x2f800000
	s_delay_alu instid0(SALU_CYCLE_3) | instskip(NEXT) | instid1(SALU_CYCLE_3)
	s_trunc_f32 s5, s5
	s_fmamk_f32 s2, s5, 0xcf800000, s2
	s_cvt_u32_f32 s19, s5
	s_delay_alu instid0(SALU_CYCLE_2) | instskip(NEXT) | instid1(SALU_CYCLE_3)
	s_cvt_u32_f32 s18, s2
	s_mul_u64 s[22:23], s[20:21], s[18:19]
	s_delay_alu instid0(SALU_CYCLE_1)
	s_mul_hi_u32 s27, s18, s23
	s_mul_i32 s26, s18, s23
	s_mul_hi_u32 s24, s18, s22
	s_mul_i32 s5, s19, s22
	s_add_nc_u64 s[26:27], s[24:25], s[26:27]
	s_mul_hi_u32 s2, s19, s22
	s_mul_hi_u32 s15, s19, s23
	s_add_co_u32 s5, s26, s5
	s_add_co_ci_u32 s24, s27, s2
	s_mul_i32 s22, s19, s23
	s_add_co_ci_u32 s23, s15, 0
	s_delay_alu instid0(SALU_CYCLE_1) | instskip(NEXT) | instid1(SALU_CYCLE_1)
	s_add_nc_u64 s[22:23], s[24:25], s[22:23]
	s_add_co_u32 s18, s18, s22
	s_cselect_b32 s2, -1, 0
	s_delay_alu instid0(SALU_CYCLE_1) | instskip(SKIP_1) | instid1(SALU_CYCLE_1)
	s_cmp_lg_u32 s2, 0
	s_add_co_ci_u32 s19, s19, s23
	s_mul_u64 s[20:21], s[20:21], s[18:19]
	s_delay_alu instid0(SALU_CYCLE_1)
	s_mul_hi_u32 s23, s18, s21
	s_mul_i32 s22, s18, s21
	s_mul_hi_u32 s24, s18, s20
	s_mul_i32 s5, s19, s20
	s_add_nc_u64 s[22:23], s[24:25], s[22:23]
	s_mul_hi_u32 s2, s19, s20
	s_mul_hi_u32 s15, s19, s21
	s_add_co_u32 s5, s22, s5
	s_add_co_ci_u32 s24, s23, s2
	s_mul_i32 s20, s19, s21
	s_add_co_ci_u32 s21, s15, 0
	s_delay_alu instid0(SALU_CYCLE_1) | instskip(NEXT) | instid1(SALU_CYCLE_1)
	s_add_nc_u64 s[20:21], s[24:25], s[20:21]
	s_add_co_u32 s2, s18, s20
	s_cselect_b32 s5, -1, 0
	v_mul_hi_u32 v26, v18, s2
	s_cmp_lg_u32 s5, 0
	s_add_co_ci_u32 s24, s19, s21
	s_mov_b64 s[18:19], 0xffffffff
	v_mul_u64_e32 v[22:23], s[24:25], v[18:19]
	s_and_b64 s[18:19], s[2:3], s[18:19]
	v_mul_u64_e32 v[24:25], s[24:25], v[20:21]
	v_mul_u64_e32 v[16:17], s[18:19], v[20:21]
	s_delay_alu instid0(VALU_DEP_3) | instskip(NEXT) | instid1(VALU_DEP_1)
	v_add_nc_u64_e32 v[22:23], v[26:27], v[22:23]
	v_add_co_u32 v12, vcc_lo, v22, v16
	s_delay_alu instid0(VALU_DEP_2) | instskip(SKIP_1) | instid1(VALU_DEP_1)
	v_add_co_ci_u32_e32 v12, vcc_lo, v23, v17, vcc_lo
	v_add_co_ci_u32_e32 v25, vcc_lo, 0, v25, vcc_lo
	v_add_nc_u64_e32 v[12:13], v[12:13], v[24:25]
	s_delay_alu instid0(VALU_DEP_1) | instskip(NEXT) | instid1(VALU_DEP_1)
	v_mul_u64_e32 v[12:13], s[12:13], v[12:13]
	v_sub_nc_u32_e32 v16, v20, v13
	s_delay_alu instid0(VALU_DEP_2) | instskip(NEXT) | instid1(VALU_DEP_1)
	v_sub_co_u32 v12, vcc_lo, v18, v12
	v_sub_co_ci_u32_e64 v13, null, v20, v13, vcc_lo
	s_delay_alu instid0(VALU_DEP_3) | instskip(NEXT) | instid1(VALU_DEP_3)
	v_subrev_co_ci_u32_e64 v16, null, s13, v16, vcc_lo
	v_sub_co_u32 v17, vcc_lo, v12, s12
	v_cmp_le_u32_e64 s2, s12, v12
	s_delay_alu instid0(VALU_DEP_3) | instskip(SKIP_1) | instid1(VALU_DEP_3)
	v_subrev_co_ci_u32_e64 v18, null, 0, v16, vcc_lo
	v_subrev_co_ci_u32_e64 v16, null, s13, v16, vcc_lo
	v_cndmask_b32_e64 v19, 0, -1, s2
	v_cmp_le_u32_e64 s2, s12, v17
	v_cmp_le_u32_e32 vcc_lo, s13, v13
	s_delay_alu instid0(VALU_DEP_2) | instskip(SKIP_3) | instid1(VALU_DEP_3)
	v_cndmask_b32_e64 v20, 0, -1, s2
	v_cmp_le_u32_e64 s2, s13, v18
	v_cndmask_b32_e64 v22, 0, -1, vcc_lo
	v_cmp_eq_u32_e32 vcc_lo, s13, v18
	v_cndmask_b32_e64 v21, 0, -1, s2
	v_cmp_eq_u32_e64 s2, s13, v13
	s_delay_alu instid0(VALU_DEP_2) | instskip(SKIP_1) | instid1(VALU_DEP_1)
	v_cndmask_b32_e32 v20, v21, v20, vcc_lo
	v_sub_co_u32 v21, vcc_lo, v17, s12
	v_subrev_co_ci_u32_e64 v16, null, 0, v16, vcc_lo
	s_delay_alu instid0(VALU_DEP_3) | instskip(NEXT) | instid1(VALU_DEP_3)
	v_cmp_ne_u32_e32 vcc_lo, 0, v20
	v_dual_cndmask_b32 v19, v22, v19, s2 :: v_dual_cndmask_b32 v17, v17, v21, vcc_lo
	s_delay_alu instid0(VALU_DEP_3) | instskip(NEXT) | instid1(VALU_DEP_2)
	v_cndmask_b32_e32 v16, v18, v16, vcc_lo
	v_cmp_ne_u32_e32 vcc_lo, 0, v19
	s_delay_alu instid0(VALU_DEP_2) | instskip(NEXT) | instid1(VALU_DEP_1)
	v_dual_cndmask_b32 v12, v12, v17 :: v_dual_cndmask_b32 v13, v13, v16
	v_xor_b32_e32 v12, v12, v14
	s_delay_alu instid0(VALU_DEP_2) | instskip(NEXT) | instid1(VALU_DEP_1)
	v_xor_b32_e32 v13, v13, v14
	v_sub_nc_u64_e32 v[14:15], v[12:13], v[14:15]
.LBB0_26:
	s_and_not1_saveexec_b32 s2, s14
	s_cbranch_execz .LBB0_28
; %bb.27:
	v_cvt_f32_u32_e32 v12, s4
	s_sub_co_i32 s5, 0, s4
	v_mov_b32_e32 v15, 0
	s_delay_alu instid0(VALU_DEP_2) | instskip(SKIP_1) | instid1(TRANS32_DEP_1)
	v_rcp_iflag_f32_e32 v12, v12
	v_nop
	v_mul_f32_e32 v12, 0x4f7ffffe, v12
	s_delay_alu instid0(VALU_DEP_1) | instskip(NEXT) | instid1(VALU_DEP_1)
	v_cvt_u32_f32_e32 v12, v12
	v_mul_lo_u32 v13, s5, v12
	s_delay_alu instid0(VALU_DEP_1) | instskip(NEXT) | instid1(VALU_DEP_1)
	v_mul_hi_u32 v13, v12, v13
	v_add_nc_u32_e32 v12, v12, v13
	s_delay_alu instid0(VALU_DEP_1) | instskip(NEXT) | instid1(VALU_DEP_1)
	v_mul_hi_u32 v12, v10, v12
	v_mul_lo_u32 v12, v12, s4
	s_delay_alu instid0(VALU_DEP_1) | instskip(NEXT) | instid1(VALU_DEP_1)
	v_sub_nc_u32_e32 v12, v10, v12
	v_subrev_nc_u32_e32 v13, s4, v12
	v_cmp_le_u32_e32 vcc_lo, s4, v12
	s_delay_alu instid0(VALU_DEP_2) | instskip(NEXT) | instid1(VALU_DEP_1)
	v_cndmask_b32_e32 v12, v12, v13, vcc_lo
	v_subrev_nc_u32_e32 v13, s4, v12
	v_cmp_le_u32_e32 vcc_lo, s4, v12
	s_delay_alu instid0(VALU_DEP_2)
	v_cndmask_b32_e32 v14, v12, v13, vcc_lo
.LBB0_28:
	s_or_b32 exec_lo, exec_lo, s2
	s_clause 0x2
	s_load_b256 s[20:27], s[0:1], 0x88
	s_load_b64 s[4:5], s[0:1], 0xa8
	s_load_b128 s[12:15], s[0:1], 0x50
	s_wait_kmcnt 0x0
	v_mul_u64_e32 v[2:3], s[24:25], v[2:3]
	v_mul_u64_e32 v[0:1], s[26:27], v[0:1]
	v_mul_u64_e32 v[4:5], s[4:5], v[4:5]
	s_mul_u64 s[4:5], s[20:21], s[10:11]
	s_mul_u64 s[18:19], s[22:23], s[8:9]
	s_lshl_b64 s[4:5], s[4:5], 3
	s_load_b256 s[20:27], s[0:1], 0x30
	s_add_nc_u64 s[4:5], s[14:15], s[4:5]
	s_lshl_b64 s[14:15], s[18:19], 3
	s_wait_xcnt 0x0
	s_load_b64 s[0:1], s[0:1], 0x0
	s_add_nc_u64 s[4:5], s[4:5], s[14:15]
	s_delay_alu instid0(VALU_DEP_3) | instid1(SALU_CYCLE_1)
	v_lshl_add_u64 v[2:3], v[2:3], 3, s[4:5]
	s_wait_kmcnt 0x0
	s_mul_u64 s[4:5], s[20:21], s[10:11]
	s_delay_alu instid0(SALU_CYCLE_1) | instskip(NEXT) | instid1(SALU_CYCLE_1)
	s_lshl_b64 s[4:5], s[4:5], 3
	s_add_nc_u64 s[0:1], s[0:1], s[4:5]
	s_delay_alu instid0(VALU_DEP_3) | instskip(SKIP_2) | instid1(SALU_CYCLE_1)
	v_lshl_add_u64 v[0:1], v[0:1], 3, v[2:3]
	v_mul_u64_e32 v[2:3], s[6:7], v[10:11]
	s_mul_u64 s[6:7], s[22:23], s[8:9]
	s_lshl_b64 s[4:5], s[6:7], 3
	s_delay_alu instid0(VALU_DEP_2)
	v_lshl_add_u64 v[0:1], v[4:5], 3, v[0:1]
	v_mul_u64_e32 v[4:5], s[24:25], v[8:9]
	s_add_nc_u64 s[0:1], s[0:1], s[4:5]
	global_load_b64 v[0:1], v[0:1], off
	v_sub_nc_u64_e32 v[2:3], v[6:7], v[2:3]
	v_mul_u64_e32 v[6:7], s[26:27], v[14:15]
	v_lshl_add_u64 v[4:5], v[4:5], 3, s[0:1]
	s_delay_alu instid0(VALU_DEP_3) | instskip(NEXT) | instid1(VALU_DEP_2)
	v_mul_u64_e32 v[2:3], s[12:13], v[2:3]
	v_lshl_add_u64 v[4:5], v[6:7], 3, v[4:5]
	s_delay_alu instid0(VALU_DEP_1)
	v_lshl_add_u64 v[2:3], v[2:3], 3, v[4:5]
	s_wait_xcnt 0x0
	s_wait_loadcnt 0x0
	global_atomic_add_f64 v[2:3], v[0:1], off scope:SCOPE_DEV
.LBB0_29:
	s_wait_xcnt 0x0
	s_or_b32 exec_lo, exec_lo, s17
	s_delay_alu instid0(SALU_CYCLE_1)
	s_and_b32 s9, s16, exec_lo
.LBB0_30:
	s_and_not1_saveexec_b32 s0, s3
	s_cbranch_execnz .LBB0_34
; %bb.31:
	s_or_b32 exec_lo, exec_lo, s0
	s_delay_alu instid0(SALU_CYCLE_1)
	s_and_b32 exec_lo, exec_lo, s9
.LBB0_32:
	; divergent unreachable
.LBB0_33:
	s_endpgm
.LBB0_34:
	s_or_b32 s9, s9, exec_lo
	s_trap 2
	s_or_b32 exec_lo, exec_lo, s0
	s_delay_alu instid0(SALU_CYCLE_1)
	s_and_b32 exec_lo, exec_lo, s9
	s_cbranch_execnz .LBB0_32
	s_branch .LBB0_33
.LBB0_35:
	s_mov_b32 s16, exec_lo
	s_trap 2
                                        ; implicit-def: $vgpr6_vgpr7
                                        ; implicit-def: $vgpr8_vgpr9
                                        ; implicit-def: $vgpr2_vgpr3
                                        ; implicit-def: $vgpr0_vgpr1
                                        ; implicit-def: $vgpr4_vgpr5
	s_and_not1_saveexec_b32 s17, s2
	s_cbranch_execnz .LBB0_20
	s_branch .LBB0_29
	.section	.rodata,"a",@progbits
	.p2align	6, 0x0
	.amdhsa_kernel _ZN2at6native12_GLOBAL__N_140fractional_max_pool3d_backward_out_frameIdEEvN5torch10headeronly6detail27GenericPackedTensorAccessorINS5_14TensorAccessorIN3c108ArrayRefIlEET_Lm4ENS4_16DefaultPtrTraitsElEENS_6detail16IndexBoundsCheckILm5ElEESB_Lm5ESC_lEENS6_INS7_ISA_KSB_Lm4ESC_lEESG_SI_Lm5ESC_lEENS6_INS7_ISA_KlLm4ESC_lEESG_SL_Lm5ESC_lEE
		.amdhsa_group_segment_fixed_size 0
		.amdhsa_private_segment_fixed_size 0
		.amdhsa_kernarg_size 520
		.amdhsa_user_sgpr_count 2
		.amdhsa_user_sgpr_dispatch_ptr 0
		.amdhsa_user_sgpr_queue_ptr 0
		.amdhsa_user_sgpr_kernarg_segment_ptr 1
		.amdhsa_user_sgpr_dispatch_id 0
		.amdhsa_user_sgpr_kernarg_preload_length 0
		.amdhsa_user_sgpr_kernarg_preload_offset 0
		.amdhsa_user_sgpr_private_segment_size 0
		.amdhsa_wavefront_size32 1
		.amdhsa_uses_dynamic_stack 0
		.amdhsa_enable_private_segment 0
		.amdhsa_system_sgpr_workgroup_id_x 1
		.amdhsa_system_sgpr_workgroup_id_y 1
		.amdhsa_system_sgpr_workgroup_id_z 1
		.amdhsa_system_sgpr_workgroup_info 0
		.amdhsa_system_vgpr_workitem_id 0
		.amdhsa_next_free_vgpr 28
		.amdhsa_next_free_sgpr 30
		.amdhsa_named_barrier_count 0
		.amdhsa_reserve_vcc 1
		.amdhsa_float_round_mode_32 0
		.amdhsa_float_round_mode_16_64 0
		.amdhsa_float_denorm_mode_32 3
		.amdhsa_float_denorm_mode_16_64 3
		.amdhsa_fp16_overflow 0
		.amdhsa_memory_ordered 1
		.amdhsa_forward_progress 1
		.amdhsa_inst_pref_size 42
		.amdhsa_round_robin_scheduling 0
		.amdhsa_exception_fp_ieee_invalid_op 0
		.amdhsa_exception_fp_denorm_src 0
		.amdhsa_exception_fp_ieee_div_zero 0
		.amdhsa_exception_fp_ieee_overflow 0
		.amdhsa_exception_fp_ieee_underflow 0
		.amdhsa_exception_fp_ieee_inexact 0
		.amdhsa_exception_int_div_zero 0
	.end_amdhsa_kernel
	.section	.text._ZN2at6native12_GLOBAL__N_140fractional_max_pool3d_backward_out_frameIdEEvN5torch10headeronly6detail27GenericPackedTensorAccessorINS5_14TensorAccessorIN3c108ArrayRefIlEET_Lm4ENS4_16DefaultPtrTraitsElEENS_6detail16IndexBoundsCheckILm5ElEESB_Lm5ESC_lEENS6_INS7_ISA_KSB_Lm4ESC_lEESG_SI_Lm5ESC_lEENS6_INS7_ISA_KlLm4ESC_lEESG_SL_Lm5ESC_lEE,"axG",@progbits,_ZN2at6native12_GLOBAL__N_140fractional_max_pool3d_backward_out_frameIdEEvN5torch10headeronly6detail27GenericPackedTensorAccessorINS5_14TensorAccessorIN3c108ArrayRefIlEET_Lm4ENS4_16DefaultPtrTraitsElEENS_6detail16IndexBoundsCheckILm5ElEESB_Lm5ESC_lEENS6_INS7_ISA_KSB_Lm4ESC_lEESG_SI_Lm5ESC_lEENS6_INS7_ISA_KlLm4ESC_lEESG_SL_Lm5ESC_lEE,comdat
.Lfunc_end0:
	.size	_ZN2at6native12_GLOBAL__N_140fractional_max_pool3d_backward_out_frameIdEEvN5torch10headeronly6detail27GenericPackedTensorAccessorINS5_14TensorAccessorIN3c108ArrayRefIlEET_Lm4ENS4_16DefaultPtrTraitsElEENS_6detail16IndexBoundsCheckILm5ElEESB_Lm5ESC_lEENS6_INS7_ISA_KSB_Lm4ESC_lEESG_SI_Lm5ESC_lEENS6_INS7_ISA_KlLm4ESC_lEESG_SL_Lm5ESC_lEE, .Lfunc_end0-_ZN2at6native12_GLOBAL__N_140fractional_max_pool3d_backward_out_frameIdEEvN5torch10headeronly6detail27GenericPackedTensorAccessorINS5_14TensorAccessorIN3c108ArrayRefIlEET_Lm4ENS4_16DefaultPtrTraitsElEENS_6detail16IndexBoundsCheckILm5ElEESB_Lm5ESC_lEENS6_INS7_ISA_KSB_Lm4ESC_lEESG_SI_Lm5ESC_lEENS6_INS7_ISA_KlLm4ESC_lEESG_SL_Lm5ESC_lEE
                                        ; -- End function
	.set _ZN2at6native12_GLOBAL__N_140fractional_max_pool3d_backward_out_frameIdEEvN5torch10headeronly6detail27GenericPackedTensorAccessorINS5_14TensorAccessorIN3c108ArrayRefIlEET_Lm4ENS4_16DefaultPtrTraitsElEENS_6detail16IndexBoundsCheckILm5ElEESB_Lm5ESC_lEENS6_INS7_ISA_KSB_Lm4ESC_lEESG_SI_Lm5ESC_lEENS6_INS7_ISA_KlLm4ESC_lEESG_SL_Lm5ESC_lEE.num_vgpr, 28
	.set _ZN2at6native12_GLOBAL__N_140fractional_max_pool3d_backward_out_frameIdEEvN5torch10headeronly6detail27GenericPackedTensorAccessorINS5_14TensorAccessorIN3c108ArrayRefIlEET_Lm4ENS4_16DefaultPtrTraitsElEENS_6detail16IndexBoundsCheckILm5ElEESB_Lm5ESC_lEENS6_INS7_ISA_KSB_Lm4ESC_lEESG_SI_Lm5ESC_lEENS6_INS7_ISA_KlLm4ESC_lEESG_SL_Lm5ESC_lEE.num_agpr, 0
	.set _ZN2at6native12_GLOBAL__N_140fractional_max_pool3d_backward_out_frameIdEEvN5torch10headeronly6detail27GenericPackedTensorAccessorINS5_14TensorAccessorIN3c108ArrayRefIlEET_Lm4ENS4_16DefaultPtrTraitsElEENS_6detail16IndexBoundsCheckILm5ElEESB_Lm5ESC_lEENS6_INS7_ISA_KSB_Lm4ESC_lEESG_SI_Lm5ESC_lEENS6_INS7_ISA_KlLm4ESC_lEESG_SL_Lm5ESC_lEE.numbered_sgpr, 30
	.set _ZN2at6native12_GLOBAL__N_140fractional_max_pool3d_backward_out_frameIdEEvN5torch10headeronly6detail27GenericPackedTensorAccessorINS5_14TensorAccessorIN3c108ArrayRefIlEET_Lm4ENS4_16DefaultPtrTraitsElEENS_6detail16IndexBoundsCheckILm5ElEESB_Lm5ESC_lEENS6_INS7_ISA_KSB_Lm4ESC_lEESG_SI_Lm5ESC_lEENS6_INS7_ISA_KlLm4ESC_lEESG_SL_Lm5ESC_lEE.num_named_barrier, 0
	.set _ZN2at6native12_GLOBAL__N_140fractional_max_pool3d_backward_out_frameIdEEvN5torch10headeronly6detail27GenericPackedTensorAccessorINS5_14TensorAccessorIN3c108ArrayRefIlEET_Lm4ENS4_16DefaultPtrTraitsElEENS_6detail16IndexBoundsCheckILm5ElEESB_Lm5ESC_lEENS6_INS7_ISA_KSB_Lm4ESC_lEESG_SI_Lm5ESC_lEENS6_INS7_ISA_KlLm4ESC_lEESG_SL_Lm5ESC_lEE.private_seg_size, 0
	.set _ZN2at6native12_GLOBAL__N_140fractional_max_pool3d_backward_out_frameIdEEvN5torch10headeronly6detail27GenericPackedTensorAccessorINS5_14TensorAccessorIN3c108ArrayRefIlEET_Lm4ENS4_16DefaultPtrTraitsElEENS_6detail16IndexBoundsCheckILm5ElEESB_Lm5ESC_lEENS6_INS7_ISA_KSB_Lm4ESC_lEESG_SI_Lm5ESC_lEENS6_INS7_ISA_KlLm4ESC_lEESG_SL_Lm5ESC_lEE.uses_vcc, 1
	.set _ZN2at6native12_GLOBAL__N_140fractional_max_pool3d_backward_out_frameIdEEvN5torch10headeronly6detail27GenericPackedTensorAccessorINS5_14TensorAccessorIN3c108ArrayRefIlEET_Lm4ENS4_16DefaultPtrTraitsElEENS_6detail16IndexBoundsCheckILm5ElEESB_Lm5ESC_lEENS6_INS7_ISA_KSB_Lm4ESC_lEESG_SI_Lm5ESC_lEENS6_INS7_ISA_KlLm4ESC_lEESG_SL_Lm5ESC_lEE.uses_flat_scratch, 0
	.set _ZN2at6native12_GLOBAL__N_140fractional_max_pool3d_backward_out_frameIdEEvN5torch10headeronly6detail27GenericPackedTensorAccessorINS5_14TensorAccessorIN3c108ArrayRefIlEET_Lm4ENS4_16DefaultPtrTraitsElEENS_6detail16IndexBoundsCheckILm5ElEESB_Lm5ESC_lEENS6_INS7_ISA_KSB_Lm4ESC_lEESG_SI_Lm5ESC_lEENS6_INS7_ISA_KlLm4ESC_lEESG_SL_Lm5ESC_lEE.has_dyn_sized_stack, 0
	.set _ZN2at6native12_GLOBAL__N_140fractional_max_pool3d_backward_out_frameIdEEvN5torch10headeronly6detail27GenericPackedTensorAccessorINS5_14TensorAccessorIN3c108ArrayRefIlEET_Lm4ENS4_16DefaultPtrTraitsElEENS_6detail16IndexBoundsCheckILm5ElEESB_Lm5ESC_lEENS6_INS7_ISA_KSB_Lm4ESC_lEESG_SI_Lm5ESC_lEENS6_INS7_ISA_KlLm4ESC_lEESG_SL_Lm5ESC_lEE.has_recursion, 0
	.set _ZN2at6native12_GLOBAL__N_140fractional_max_pool3d_backward_out_frameIdEEvN5torch10headeronly6detail27GenericPackedTensorAccessorINS5_14TensorAccessorIN3c108ArrayRefIlEET_Lm4ENS4_16DefaultPtrTraitsElEENS_6detail16IndexBoundsCheckILm5ElEESB_Lm5ESC_lEENS6_INS7_ISA_KSB_Lm4ESC_lEESG_SI_Lm5ESC_lEENS6_INS7_ISA_KlLm4ESC_lEESG_SL_Lm5ESC_lEE.has_indirect_call, 0
	.section	.AMDGPU.csdata,"",@progbits
; Kernel info:
; codeLenInByte = 5288
; TotalNumSgprs: 32
; NumVgprs: 28
; ScratchSize: 0
; MemoryBound: 0
; FloatMode: 240
; IeeeMode: 1
; LDSByteSize: 0 bytes/workgroup (compile time only)
; SGPRBlocks: 0
; VGPRBlocks: 1
; NumSGPRsForWavesPerEU: 32
; NumVGPRsForWavesPerEU: 28
; NamedBarCnt: 0
; Occupancy: 16
; WaveLimiterHint : 1
; COMPUTE_PGM_RSRC2:SCRATCH_EN: 0
; COMPUTE_PGM_RSRC2:USER_SGPR: 2
; COMPUTE_PGM_RSRC2:TRAP_HANDLER: 0
; COMPUTE_PGM_RSRC2:TGID_X_EN: 1
; COMPUTE_PGM_RSRC2:TGID_Y_EN: 1
; COMPUTE_PGM_RSRC2:TGID_Z_EN: 1
; COMPUTE_PGM_RSRC2:TIDIG_COMP_CNT: 0
	.section	.text._ZN2at6native12_GLOBAL__N_140fractional_max_pool3d_backward_out_frameIfEEvN5torch10headeronly6detail27GenericPackedTensorAccessorINS5_14TensorAccessorIN3c108ArrayRefIlEET_Lm4ENS4_16DefaultPtrTraitsElEENS_6detail16IndexBoundsCheckILm5ElEESB_Lm5ESC_lEENS6_INS7_ISA_KSB_Lm4ESC_lEESG_SI_Lm5ESC_lEENS6_INS7_ISA_KlLm4ESC_lEESG_SL_Lm5ESC_lEE,"axG",@progbits,_ZN2at6native12_GLOBAL__N_140fractional_max_pool3d_backward_out_frameIfEEvN5torch10headeronly6detail27GenericPackedTensorAccessorINS5_14TensorAccessorIN3c108ArrayRefIlEET_Lm4ENS4_16DefaultPtrTraitsElEENS_6detail16IndexBoundsCheckILm5ElEESB_Lm5ESC_lEENS6_INS7_ISA_KSB_Lm4ESC_lEESG_SI_Lm5ESC_lEENS6_INS7_ISA_KlLm4ESC_lEESG_SL_Lm5ESC_lEE,comdat
	.globl	_ZN2at6native12_GLOBAL__N_140fractional_max_pool3d_backward_out_frameIfEEvN5torch10headeronly6detail27GenericPackedTensorAccessorINS5_14TensorAccessorIN3c108ArrayRefIlEET_Lm4ENS4_16DefaultPtrTraitsElEENS_6detail16IndexBoundsCheckILm5ElEESB_Lm5ESC_lEENS6_INS7_ISA_KSB_Lm4ESC_lEESG_SI_Lm5ESC_lEENS6_INS7_ISA_KlLm4ESC_lEESG_SL_Lm5ESC_lEE ; -- Begin function _ZN2at6native12_GLOBAL__N_140fractional_max_pool3d_backward_out_frameIfEEvN5torch10headeronly6detail27GenericPackedTensorAccessorINS5_14TensorAccessorIN3c108ArrayRefIlEET_Lm4ENS4_16DefaultPtrTraitsElEENS_6detail16IndexBoundsCheckILm5ElEESB_Lm5ESC_lEENS6_INS7_ISA_KSB_Lm4ESC_lEESG_SI_Lm5ESC_lEENS6_INS7_ISA_KlLm4ESC_lEESG_SL_Lm5ESC_lEE
	.p2align	8
	.type	_ZN2at6native12_GLOBAL__N_140fractional_max_pool3d_backward_out_frameIfEEvN5torch10headeronly6detail27GenericPackedTensorAccessorINS5_14TensorAccessorIN3c108ArrayRefIlEET_Lm4ENS4_16DefaultPtrTraitsElEENS_6detail16IndexBoundsCheckILm5ElEESB_Lm5ESC_lEENS6_INS7_ISA_KSB_Lm4ESC_lEESG_SI_Lm5ESC_lEENS6_INS7_ISA_KlLm4ESC_lEESG_SL_Lm5ESC_lEE,@function
_ZN2at6native12_GLOBAL__N_140fractional_max_pool3d_backward_out_frameIfEEvN5torch10headeronly6detail27GenericPackedTensorAccessorINS5_14TensorAccessorIN3c108ArrayRefIlEET_Lm4ENS4_16DefaultPtrTraitsElEENS_6detail16IndexBoundsCheckILm5ElEESB_Lm5ESC_lEENS6_INS7_ISA_KSB_Lm4ESC_lEESG_SI_Lm5ESC_lEENS6_INS7_ISA_KlLm4ESC_lEESG_SL_Lm5ESC_lEE: ; @_ZN2at6native12_GLOBAL__N_140fractional_max_pool3d_backward_out_frameIfEEvN5torch10headeronly6detail27GenericPackedTensorAccessorINS5_14TensorAccessorIN3c108ArrayRefIlEET_Lm4ENS4_16DefaultPtrTraitsElEENS_6detail16IndexBoundsCheckILm5ElEESB_Lm5ESC_lEENS6_INS7_ISA_KSB_Lm4ESC_lEESG_SI_Lm5ESC_lEENS6_INS7_ISA_KlLm4ESC_lEESG_SL_Lm5ESC_lEE
; %bb.0:
	s_clause 0x2
	s_load_b32 s2, s[0:1], 0x114
	s_load_b128 s[4:7], s[0:1], 0x70
	s_load_b64 s[8:9], s[0:1], 0x80
	s_bfe_u32 s3, ttmp6, 0x4000c
	v_mov_b32_e32 v2, 0
	s_add_co_i32 s11, s3, 1
	s_and_b32 s10, ttmp6, 15
	s_mul_i32 s11, ttmp9, s11
	s_getreg_b32 s3, hwreg(HW_REG_IB_STS2, 6, 4)
	v_mov_b32_e32 v1, v2
	s_add_co_i32 s10, s10, s11
	s_wait_kmcnt 0x0
	s_and_b32 s2, s2, 0xffff
	s_cmp_eq_u32 s3, 0
	s_cselect_b32 s10, ttmp9, s10
	s_delay_alu instid0(SALU_CYCLE_1)
	v_mad_nc_u64_u32 v[4:5], s2, s10, v[0:1]
	s_mul_u64 s[10:11], s[8:9], s[6:7]
	s_mov_b32 s2, exec_lo
	s_mul_u64 s[4:5], s[10:11], s[4:5]
	s_delay_alu instid0(VALU_DEP_1) | instid1(SALU_CYCLE_1)
	v_cmpx_gt_i64_e64 s[4:5], v[4:5]
	s_cbranch_execz .LBB1_33
; %bb.1:
	v_dual_ashrrev_i32 v6, 31, v5 :: v_dual_bitop2_b32 v3, s9, v5 bitop3:0x54
                                        ; implicit-def: $vgpr8_vgpr9
	s_mov_b32 s2, exec_lo
	s_delay_alu instid0(VALU_DEP_1)
	v_cmpx_ne_u64_e32 0, v[2:3]
	s_xor_b32 s14, exec_lo, s2
	s_cbranch_execz .LBB1_3
; %bb.2:
	s_ashr_i32 s4, s9, 31
	s_mov_b32 s23, 0
	s_mov_b32 s5, s4
	v_dual_mov_b32 v7, v6 :: v_dual_mov_b32 v3, 0
	s_add_nc_u64 s[12:13], s[8:9], s[4:5]
	s_delay_alu instid0(SALU_CYCLE_1) | instskip(NEXT) | instid1(VALU_DEP_1)
	s_xor_b64 s[12:13], s[12:13], s[4:5]
	v_add_nc_u64_e32 v[0:1], v[4:5], v[6:7]
	s_cvt_f32_u32 s2, s12
	s_cvt_f32_u32 s5, s13
	s_sub_nc_u64 s[18:19], 0, s[12:13]
	v_dual_mov_b32 v9, v3 :: v_dual_mov_b32 v15, v3
	s_delay_alu instid0(SALU_CYCLE_1) | instskip(NEXT) | instid1(VALU_DEP_2)
	s_fmamk_f32 s2, s5, 0x4f800000, s2
	v_xor_b32_e32 v2, v0, v6
	v_xor_b32_e32 v8, v1, v6
	s_delay_alu instid0(SALU_CYCLE_1) | instskip(NEXT) | instid1(TRANS32_DEP_1)
	v_s_rcp_f32 s2, s2
	s_mul_f32 s2, s2, 0x5f7ffffc
	s_delay_alu instid0(SALU_CYCLE_3) | instskip(NEXT) | instid1(SALU_CYCLE_3)
	s_mul_f32 s5, s2, 0x2f800000
	s_trunc_f32 s5, s5
	s_delay_alu instid0(SALU_CYCLE_3) | instskip(SKIP_1) | instid1(SALU_CYCLE_2)
	s_fmamk_f32 s2, s5, 0xcf800000, s2
	s_cvt_u32_f32 s17, s5
	s_cvt_u32_f32 s16, s2
	s_delay_alu instid0(SALU_CYCLE_3) | instskip(NEXT) | instid1(SALU_CYCLE_1)
	s_mul_u64 s[20:21], s[18:19], s[16:17]
	s_mul_hi_u32 s25, s16, s21
	s_mul_i32 s24, s16, s21
	s_mul_hi_u32 s22, s16, s20
	s_mul_i32 s5, s17, s20
	s_add_nc_u64 s[24:25], s[22:23], s[24:25]
	s_mul_hi_u32 s2, s17, s20
	s_mul_hi_u32 s15, s17, s21
	s_add_co_u32 s5, s24, s5
	s_add_co_ci_u32 s22, s25, s2
	s_mul_i32 s20, s17, s21
	s_add_co_ci_u32 s21, s15, 0
	s_delay_alu instid0(SALU_CYCLE_1) | instskip(NEXT) | instid1(SALU_CYCLE_1)
	s_add_nc_u64 s[20:21], s[22:23], s[20:21]
	s_add_co_u32 s16, s16, s20
	s_cselect_b32 s2, -1, 0
	s_delay_alu instid0(SALU_CYCLE_1) | instskip(SKIP_1) | instid1(SALU_CYCLE_1)
	s_cmp_lg_u32 s2, 0
	s_add_co_ci_u32 s17, s17, s21
	s_mul_u64 s[18:19], s[18:19], s[16:17]
	s_delay_alu instid0(SALU_CYCLE_1)
	s_mul_hi_u32 s21, s16, s19
	s_mul_i32 s20, s16, s19
	s_mul_hi_u32 s22, s16, s18
	s_mul_i32 s5, s17, s18
	s_add_nc_u64 s[20:21], s[22:23], s[20:21]
	s_mul_hi_u32 s2, s17, s18
	s_mul_hi_u32 s15, s17, s19
	s_add_co_u32 s5, s20, s5
	s_add_co_ci_u32 s22, s21, s2
	s_mul_i32 s18, s17, s19
	s_add_co_ci_u32 s19, s15, 0
	s_delay_alu instid0(SALU_CYCLE_1) | instskip(NEXT) | instid1(SALU_CYCLE_1)
	s_add_nc_u64 s[18:19], s[22:23], s[18:19]
	s_add_co_u32 s2, s16, s18
	s_cselect_b32 s5, -1, 0
	v_nop
	v_mul_hi_u32 v14, v2, s2
	s_cmp_lg_u32 s5, 0
	s_add_co_ci_u32 s22, s17, s19
	s_mov_b64 s[16:17], 0xffffffff
	v_mul_u64_e32 v[10:11], s[22:23], v[2:3]
	s_and_b64 s[16:17], s[2:3], s[16:17]
	v_mul_u64_e32 v[12:13], s[22:23], v[8:9]
	v_mul_u64_e32 v[0:1], s[16:17], v[8:9]
	s_delay_alu instid0(VALU_DEP_3) | instskip(NEXT) | instid1(VALU_DEP_1)
	v_add_nc_u64_e32 v[10:11], v[14:15], v[10:11]
	v_add_co_u32 v0, vcc_lo, v10, v0
	s_delay_alu instid0(VALU_DEP_2) | instskip(SKIP_1) | instid1(VALU_DEP_1)
	v_add_co_ci_u32_e32 v14, vcc_lo, v11, v1, vcc_lo
	v_add_co_ci_u32_e32 v13, vcc_lo, 0, v13, vcc_lo
	v_add_nc_u64_e32 v[0:1], v[14:15], v[12:13]
	s_delay_alu instid0(VALU_DEP_1) | instskip(NEXT) | instid1(VALU_DEP_1)
	v_mul_u64_e32 v[10:11], s[12:13], v[0:1]
	v_sub_nc_u32_e32 v3, v8, v11
	s_delay_alu instid0(VALU_DEP_2) | instskip(NEXT) | instid1(VALU_DEP_1)
	v_sub_co_u32 v2, vcc_lo, v2, v10
	v_sub_co_ci_u32_e64 v10, null, v8, v11, vcc_lo
	s_delay_alu instid0(VALU_DEP_3) | instskip(NEXT) | instid1(VALU_DEP_3)
	v_subrev_co_ci_u32_e64 v3, null, s13, v3, vcc_lo
	v_sub_co_u32 v7, s2, v2, s12
	s_delay_alu instid0(VALU_DEP_1) | instskip(NEXT) | instid1(VALU_DEP_2)
	v_subrev_co_ci_u32_e64 v3, null, 0, v3, s2
	v_cmp_le_u32_e32 vcc_lo, s12, v7
	v_cndmask_b32_e64 v7, 0, -1, vcc_lo
	s_delay_alu instid0(VALU_DEP_3)
	v_cmp_le_u32_e32 vcc_lo, s13, v3
	v_cndmask_b32_e64 v8, 0, -1, vcc_lo
	v_cmp_le_u32_e32 vcc_lo, s12, v2
	v_cndmask_b32_e64 v11, 0, -1, vcc_lo
	;; [unrolled: 2-line block ×3, first 2 shown]
	v_cmp_eq_u32_e32 vcc_lo, s13, v3
	v_add_nc_u64_e32 v[2:3], 2, v[0:1]
	v_cndmask_b32_e32 v7, v8, v7, vcc_lo
	v_cmp_eq_u32_e32 vcc_lo, s13, v10
	v_add_nc_u64_e32 v[8:9], 1, v[0:1]
	v_cndmask_b32_e32 v10, v12, v11, vcc_lo
	s_delay_alu instid0(VALU_DEP_4) | instskip(NEXT) | instid1(VALU_DEP_2)
	v_cmp_ne_u32_e32 vcc_lo, 0, v7
	v_cmp_ne_u32_e64 s2, 0, v10
	s_delay_alu instid0(VALU_DEP_4) | instskip(NEXT) | instid1(VALU_DEP_1)
	v_cndmask_b32_e32 v7, v8, v2, vcc_lo
	v_dual_cndmask_b32 v0, v0, v7, s2 :: v_dual_bitop2_b32 v2, s4, v6 bitop3:0x14
	s_delay_alu instid0(VALU_DEP_1) | instskip(NEXT) | instid1(VALU_DEP_1)
	v_dual_cndmask_b32 v3, v9, v3, vcc_lo :: v_dual_bitop2_b32 v0, v0, v2 bitop3:0x14
	v_dual_cndmask_b32 v1, v1, v3, s2 :: v_dual_mov_b32 v3, v2
	s_delay_alu instid0(VALU_DEP_1) | instskip(NEXT) | instid1(VALU_DEP_1)
	v_xor_b32_e32 v1, v1, v2
	v_sub_nc_u64_e32 v[8:9], v[0:1], v[2:3]
.LBB1_3:
	s_and_not1_saveexec_b32 s2, s14
	s_cbranch_execz .LBB1_5
; %bb.4:
	v_cvt_f32_u32_e32 v0, s8
	s_sub_co_i32 s4, 0, s8
	v_mov_b32_e32 v9, 0
	s_delay_alu instid0(VALU_DEP_2) | instskip(SKIP_1) | instid1(TRANS32_DEP_1)
	v_rcp_iflag_f32_e32 v0, v0
	v_nop
	v_mul_f32_e32 v0, 0x4f7ffffe, v0
	s_delay_alu instid0(VALU_DEP_1) | instskip(NEXT) | instid1(VALU_DEP_1)
	v_cvt_u32_f32_e32 v0, v0
	v_mul_lo_u32 v1, s4, v0
	s_delay_alu instid0(VALU_DEP_1) | instskip(NEXT) | instid1(VALU_DEP_1)
	v_mul_hi_u32 v1, v0, v1
	v_add_nc_u32_e32 v0, v0, v1
	s_delay_alu instid0(VALU_DEP_1) | instskip(NEXT) | instid1(VALU_DEP_1)
	v_mul_hi_u32 v0, v4, v0
	v_mul_lo_u32 v1, v0, s8
	s_delay_alu instid0(VALU_DEP_1) | instskip(NEXT) | instid1(VALU_DEP_1)
	v_dual_add_nc_u32 v2, 1, v0 :: v_dual_sub_nc_u32 v1, v4, v1
	v_subrev_nc_u32_e32 v3, s8, v1
	v_cmp_le_u32_e32 vcc_lo, s8, v1
	s_delay_alu instid0(VALU_DEP_2) | instskip(NEXT) | instid1(VALU_DEP_1)
	v_dual_cndmask_b32 v1, v1, v3 :: v_dual_cndmask_b32 v0, v0, v2
	v_cmp_le_u32_e32 vcc_lo, s8, v1
	s_delay_alu instid0(VALU_DEP_2) | instskip(NEXT) | instid1(VALU_DEP_1)
	v_add_nc_u32_e32 v2, 1, v0
	v_cndmask_b32_e32 v8, v0, v2, vcc_lo
.LBB1_5:
	s_or_b32 exec_lo, exec_lo, s2
	s_delay_alu instid0(VALU_DEP_1) | instskip(SKIP_1) | instid1(VALU_DEP_1)
	v_dual_mov_b32 v2, 0 :: v_dual_bitop2_b32 v3, s7, v9 bitop3:0x54
                                        ; implicit-def: $vgpr0_vgpr1
	s_mov_b32 s2, exec_lo
	v_cmpx_ne_u64_e32 0, v[2:3]
	s_xor_b32 s12, exec_lo, s2
	s_cbranch_execz .LBB1_7
; %bb.6:
	s_ashr_i32 s4, s7, 31
	s_mov_b32 s21, 0
	s_mov_b32 s5, s4
	v_dual_mov_b32 v13, v2 :: v_dual_ashrrev_i32 v0, 31, v9
	s_add_nc_u64 s[14:15], s[6:7], s[4:5]
	v_dual_mov_b32 v21, v2 :: v_dual_mov_b32 v3, v2
	s_xor_b64 s[4:5], s[14:15], s[4:5]
	s_delay_alu instid0(VALU_DEP_2) | instskip(SKIP_3) | instid1(VALU_DEP_1)
	v_mov_b32_e32 v1, v0
	s_cvt_f32_u32 s2, s4
	s_cvt_f32_u32 s7, s5
	s_sub_nc_u64 s[16:17], 0, s[4:5]
	v_add_nc_u64_e32 v[10:11], v[8:9], v[0:1]
	s_delay_alu instid0(SALU_CYCLE_1) | instskip(SKIP_1) | instid1(SALU_CYCLE_2)
	s_fmamk_f32 s2, s7, 0x4f800000, s2
	v_mov_b32_e32 v15, v2
	v_s_rcp_f32 s2, s2
	s_delay_alu instid0(VALU_DEP_2) | instskip(NEXT) | instid1(VALU_DEP_3)
	v_xor_b32_e32 v12, v10, v0
	v_xor_b32_e32 v14, v11, v0
	s_delay_alu instid0(TRANS32_DEP_1) | instskip(NEXT) | instid1(SALU_CYCLE_3)
	s_mul_f32 s2, s2, 0x5f7ffffc
	s_mul_f32 s7, s2, 0x2f800000
	s_delay_alu instid0(SALU_CYCLE_3) | instskip(NEXT) | instid1(SALU_CYCLE_3)
	s_trunc_f32 s7, s7
	s_fmamk_f32 s2, s7, 0xcf800000, s2
	s_cvt_u32_f32 s15, s7
	s_delay_alu instid0(SALU_CYCLE_2) | instskip(NEXT) | instid1(SALU_CYCLE_3)
	s_cvt_u32_f32 s14, s2
	s_mul_u64 s[18:19], s[16:17], s[14:15]
	s_delay_alu instid0(SALU_CYCLE_1)
	s_mul_hi_u32 s23, s14, s19
	s_mul_i32 s22, s14, s19
	s_mul_hi_u32 s20, s14, s18
	s_mul_i32 s7, s15, s18
	s_add_nc_u64 s[22:23], s[20:21], s[22:23]
	s_mul_hi_u32 s2, s15, s18
	s_mul_hi_u32 s13, s15, s19
	s_add_co_u32 s7, s22, s7
	s_add_co_ci_u32 s20, s23, s2
	s_mul_i32 s18, s15, s19
	s_add_co_ci_u32 s19, s13, 0
	s_delay_alu instid0(SALU_CYCLE_1) | instskip(NEXT) | instid1(SALU_CYCLE_1)
	s_add_nc_u64 s[18:19], s[20:21], s[18:19]
	s_add_co_u32 s14, s14, s18
	s_cselect_b32 s2, -1, 0
	s_delay_alu instid0(SALU_CYCLE_1) | instskip(SKIP_1) | instid1(SALU_CYCLE_1)
	s_cmp_lg_u32 s2, 0
	s_add_co_ci_u32 s15, s15, s19
	s_mul_u64 s[16:17], s[16:17], s[14:15]
	s_delay_alu instid0(SALU_CYCLE_1)
	s_mul_hi_u32 s19, s14, s17
	s_mul_i32 s18, s14, s17
	s_mul_hi_u32 s20, s14, s16
	s_mul_i32 s7, s15, s16
	s_add_nc_u64 s[18:19], s[20:21], s[18:19]
	s_mul_hi_u32 s2, s15, s16
	s_mul_hi_u32 s13, s15, s17
	s_add_co_u32 s7, s18, s7
	s_add_co_ci_u32 s20, s19, s2
	s_mul_i32 s16, s15, s17
	s_add_co_ci_u32 s17, s13, 0
	s_delay_alu instid0(SALU_CYCLE_1) | instskip(NEXT) | instid1(SALU_CYCLE_1)
	s_add_nc_u64 s[16:17], s[20:21], s[16:17]
	s_add_co_u32 s2, s14, s16
	s_cselect_b32 s7, -1, 0
	v_mul_hi_u32 v20, v12, s2
	s_cmp_lg_u32 s7, 0
	s_add_co_ci_u32 s20, s15, s17
	s_mov_b64 s[14:15], 0xffffffff
	v_mul_u64_e32 v[16:17], s[20:21], v[12:13]
	s_and_b64 s[14:15], s[2:3], s[14:15]
	v_mul_u64_e32 v[18:19], s[20:21], v[14:15]
	v_mul_u64_e32 v[10:11], s[14:15], v[14:15]
	s_delay_alu instid0(VALU_DEP_3) | instskip(NEXT) | instid1(VALU_DEP_1)
	v_add_nc_u64_e32 v[16:17], v[20:21], v[16:17]
	v_add_co_u32 v2, vcc_lo, v16, v10
	s_delay_alu instid0(VALU_DEP_2) | instskip(SKIP_1) | instid1(VALU_DEP_1)
	v_add_co_ci_u32_e32 v2, vcc_lo, v17, v11, vcc_lo
	v_add_co_ci_u32_e32 v19, vcc_lo, 0, v19, vcc_lo
	v_add_nc_u64_e32 v[2:3], v[2:3], v[18:19]
	s_delay_alu instid0(VALU_DEP_1) | instskip(NEXT) | instid1(VALU_DEP_1)
	v_mul_u64_e32 v[2:3], s[4:5], v[2:3]
	v_sub_nc_u32_e32 v7, v14, v3
	s_delay_alu instid0(VALU_DEP_2) | instskip(NEXT) | instid1(VALU_DEP_1)
	v_sub_co_u32 v2, vcc_lo, v12, v2
	v_sub_co_ci_u32_e64 v3, null, v14, v3, vcc_lo
	s_delay_alu instid0(VALU_DEP_3) | instskip(NEXT) | instid1(VALU_DEP_3)
	v_subrev_co_ci_u32_e64 v7, null, s5, v7, vcc_lo
	v_sub_co_u32 v10, vcc_lo, v2, s4
	v_cmp_le_u32_e64 s2, s4, v2
	s_delay_alu instid0(VALU_DEP_3) | instskip(SKIP_1) | instid1(VALU_DEP_3)
	v_subrev_co_ci_u32_e64 v11, null, 0, v7, vcc_lo
	v_subrev_co_ci_u32_e64 v7, null, s5, v7, vcc_lo
	v_cndmask_b32_e64 v12, 0, -1, s2
	v_cmp_le_u32_e64 s2, s4, v10
	v_cmp_le_u32_e32 vcc_lo, s5, v3
	s_delay_alu instid0(VALU_DEP_2) | instskip(SKIP_3) | instid1(VALU_DEP_3)
	v_cndmask_b32_e64 v13, 0, -1, s2
	v_cmp_le_u32_e64 s2, s5, v11
	v_cndmask_b32_e64 v15, 0, -1, vcc_lo
	v_cmp_eq_u32_e32 vcc_lo, s5, v11
	v_cndmask_b32_e64 v14, 0, -1, s2
	v_cmp_eq_u32_e64 s2, s5, v3
	s_delay_alu instid0(VALU_DEP_2) | instskip(SKIP_1) | instid1(VALU_DEP_1)
	v_cndmask_b32_e32 v13, v14, v13, vcc_lo
	v_sub_co_u32 v14, vcc_lo, v10, s4
	v_subrev_co_ci_u32_e64 v7, null, 0, v7, vcc_lo
	s_delay_alu instid0(VALU_DEP_3) | instskip(NEXT) | instid1(VALU_DEP_3)
	v_cmp_ne_u32_e32 vcc_lo, 0, v13
	v_dual_cndmask_b32 v12, v15, v12, s2 :: v_dual_cndmask_b32 v10, v10, v14, vcc_lo
	s_delay_alu instid0(VALU_DEP_3) | instskip(NEXT) | instid1(VALU_DEP_2)
	v_cndmask_b32_e32 v7, v11, v7, vcc_lo
	v_cmp_ne_u32_e32 vcc_lo, 0, v12
	s_delay_alu instid0(VALU_DEP_2) | instskip(NEXT) | instid1(VALU_DEP_1)
	v_dual_cndmask_b32 v2, v2, v10 :: v_dual_cndmask_b32 v3, v3, v7
	v_xor_b32_e32 v2, v2, v0
	s_delay_alu instid0(VALU_DEP_2) | instskip(NEXT) | instid1(VALU_DEP_1)
	v_xor_b32_e32 v3, v3, v0
	v_sub_nc_u64_e32 v[0:1], v[2:3], v[0:1]
.LBB1_7:
	s_and_not1_saveexec_b32 s2, s12
	s_cbranch_execz .LBB1_9
; %bb.8:
	v_cvt_f32_u32_e32 v0, s6
	s_sub_co_i32 s4, 0, s6
	s_delay_alu instid0(VALU_DEP_1) | instskip(SKIP_1) | instid1(TRANS32_DEP_1)
	v_rcp_iflag_f32_e32 v0, v0
	v_nop
	v_mul_f32_e32 v0, 0x4f7ffffe, v0
	s_delay_alu instid0(VALU_DEP_1) | instskip(NEXT) | instid1(VALU_DEP_1)
	v_cvt_u32_f32_e32 v0, v0
	v_mul_lo_u32 v1, s4, v0
	s_delay_alu instid0(VALU_DEP_1) | instskip(NEXT) | instid1(VALU_DEP_1)
	v_mul_hi_u32 v1, v0, v1
	v_add_nc_u32_e32 v0, v0, v1
	s_delay_alu instid0(VALU_DEP_1) | instskip(NEXT) | instid1(VALU_DEP_1)
	v_mul_hi_u32 v0, v8, v0
	v_mul_lo_u32 v0, v0, s6
	s_delay_alu instid0(VALU_DEP_1) | instskip(NEXT) | instid1(VALU_DEP_1)
	v_sub_nc_u32_e32 v0, v8, v0
	v_subrev_nc_u32_e32 v1, s6, v0
	v_cmp_le_u32_e32 vcc_lo, s6, v0
	s_delay_alu instid0(VALU_DEP_2) | instskip(NEXT) | instid1(VALU_DEP_1)
	v_cndmask_b32_e32 v0, v0, v1, vcc_lo
	v_subrev_nc_u32_e32 v1, s6, v0
	v_cmp_le_u32_e32 vcc_lo, s6, v0
	s_delay_alu instid0(VALU_DEP_2)
	v_dual_cndmask_b32 v0, v0, v1 :: v_dual_mov_b32 v1, 0
.LBB1_9:
	s_or_b32 exec_lo, exec_lo, s2
	v_dual_mov_b32 v10, 0 :: v_dual_bitop2_b32 v11, s11, v5 bitop3:0x54
                                        ; implicit-def: $vgpr2_vgpr3
	s_mov_b32 s2, exec_lo
	s_delay_alu instid0(VALU_DEP_1)
	v_cmpx_ne_u64_e32 0, v[10:11]
	s_xor_b32 s12, exec_lo, s2
	s_cbranch_execz .LBB1_11
; %bb.10:
	s_ashr_i32 s4, s11, 31
	s_mov_b32 s21, 0
	s_mov_b32 s5, s4
	v_dual_mov_b32 v7, v6 :: v_dual_mov_b32 v13, v10
	s_add_nc_u64 s[6:7], s[10:11], s[4:5]
	v_dual_mov_b32 v21, v10 :: v_dual_mov_b32 v11, v10
	s_xor_b64 s[6:7], s[6:7], s[4:5]
	s_delay_alu instid0(VALU_DEP_2) | instskip(SKIP_4) | instid1(SALU_CYCLE_1)
	v_add_nc_u64_e32 v[2:3], v[4:5], v[6:7]
	s_cvt_f32_u32 s2, s6
	s_cvt_f32_u32 s5, s7
	s_sub_nc_u64 s[16:17], 0, s[6:7]
	v_mov_b32_e32 v15, v10
	s_fmamk_f32 s2, s5, 0x4f800000, s2
	s_delay_alu instid0(VALU_DEP_2) | instskip(SKIP_3) | instid1(TRANS32_DEP_1)
	v_xor_b32_e32 v12, v2, v6
	v_xor_b32_e32 v14, v3, v6
	v_xor_b32_e32 v6, s4, v6
	v_s_rcp_f32 s2, s2
	s_mul_f32 s2, s2, 0x5f7ffffc
	s_delay_alu instid0(SALU_CYCLE_3) | instskip(NEXT) | instid1(SALU_CYCLE_3)
	s_mul_f32 s5, s2, 0x2f800000
	s_trunc_f32 s5, s5
	s_delay_alu instid0(SALU_CYCLE_3) | instskip(SKIP_1) | instid1(SALU_CYCLE_2)
	s_fmamk_f32 s2, s5, 0xcf800000, s2
	s_cvt_u32_f32 s15, s5
	s_cvt_u32_f32 s14, s2
	s_delay_alu instid0(SALU_CYCLE_3) | instskip(NEXT) | instid1(SALU_CYCLE_1)
	s_mul_u64 s[18:19], s[16:17], s[14:15]
	s_mul_hi_u32 s23, s14, s19
	s_mul_i32 s22, s14, s19
	s_mul_hi_u32 s20, s14, s18
	s_mul_i32 s5, s15, s18
	s_add_nc_u64 s[22:23], s[20:21], s[22:23]
	s_mul_hi_u32 s2, s15, s18
	s_mul_hi_u32 s11, s15, s19
	s_add_co_u32 s5, s22, s5
	s_add_co_ci_u32 s20, s23, s2
	s_mul_i32 s18, s15, s19
	s_add_co_ci_u32 s19, s11, 0
	s_delay_alu instid0(SALU_CYCLE_1) | instskip(NEXT) | instid1(SALU_CYCLE_1)
	s_add_nc_u64 s[18:19], s[20:21], s[18:19]
	s_add_co_u32 s14, s14, s18
	s_cselect_b32 s2, -1, 0
	s_delay_alu instid0(SALU_CYCLE_1) | instskip(SKIP_1) | instid1(SALU_CYCLE_1)
	s_cmp_lg_u32 s2, 0
	s_add_co_ci_u32 s15, s15, s19
	s_mul_u64 s[16:17], s[16:17], s[14:15]
	s_delay_alu instid0(SALU_CYCLE_1)
	s_mul_hi_u32 s19, s14, s17
	s_mul_i32 s18, s14, s17
	s_mul_hi_u32 s20, s14, s16
	s_mul_i32 s5, s15, s16
	s_add_nc_u64 s[18:19], s[20:21], s[18:19]
	s_mul_hi_u32 s2, s15, s16
	s_mul_hi_u32 s11, s15, s17
	s_add_co_u32 s5, s18, s5
	s_add_co_ci_u32 s20, s19, s2
	s_mul_i32 s16, s15, s17
	s_add_co_ci_u32 s17, s11, 0
	s_delay_alu instid0(SALU_CYCLE_1) | instskip(NEXT) | instid1(SALU_CYCLE_1)
	s_add_nc_u64 s[16:17], s[20:21], s[16:17]
	s_add_co_u32 s2, s14, s16
	s_cselect_b32 s5, -1, 0
	v_nop
	v_mul_hi_u32 v20, v12, s2
	s_cmp_lg_u32 s5, 0
	s_add_co_ci_u32 s20, s15, s17
	s_mov_b64 s[14:15], 0xffffffff
	v_mul_u64_e32 v[16:17], s[20:21], v[12:13]
	s_and_b64 s[14:15], s[2:3], s[14:15]
	v_mul_u64_e32 v[18:19], s[20:21], v[14:15]
	v_mul_u64_e32 v[2:3], s[14:15], v[14:15]
	s_delay_alu instid0(VALU_DEP_3) | instskip(NEXT) | instid1(VALU_DEP_1)
	v_add_nc_u64_e32 v[16:17], v[20:21], v[16:17]
	v_add_co_u32 v2, vcc_lo, v16, v2
	s_delay_alu instid0(VALU_DEP_2) | instskip(SKIP_1) | instid1(VALU_DEP_1)
	v_add_co_ci_u32_e32 v10, vcc_lo, v17, v3, vcc_lo
	v_add_co_ci_u32_e32 v19, vcc_lo, 0, v19, vcc_lo
	v_add_nc_u64_e32 v[2:3], v[10:11], v[18:19]
	s_delay_alu instid0(VALU_DEP_1) | instskip(NEXT) | instid1(VALU_DEP_1)
	v_mul_u64_e32 v[10:11], s[6:7], v[2:3]
	v_sub_nc_u32_e32 v7, v14, v11
	s_delay_alu instid0(VALU_DEP_2) | instskip(NEXT) | instid1(VALU_DEP_1)
	v_sub_co_u32 v10, vcc_lo, v12, v10
	v_sub_co_ci_u32_e64 v14, null, v14, v11, vcc_lo
	s_delay_alu instid0(VALU_DEP_3) | instskip(NEXT) | instid1(VALU_DEP_3)
	v_subrev_co_ci_u32_e64 v7, null, s7, v7, vcc_lo
	v_sub_co_u32 v12, s2, v10, s6
	s_delay_alu instid0(VALU_DEP_1) | instskip(NEXT) | instid1(VALU_DEP_2)
	v_subrev_co_ci_u32_e64 v7, null, 0, v7, s2
	v_cmp_le_u32_e32 vcc_lo, s6, v12
	v_cndmask_b32_e64 v11, 0, -1, vcc_lo
	s_delay_alu instid0(VALU_DEP_3)
	v_cmp_le_u32_e32 vcc_lo, s7, v7
	v_cndmask_b32_e64 v12, 0, -1, vcc_lo
	v_cmp_le_u32_e32 vcc_lo, s6, v10
	v_cndmask_b32_e64 v15, 0, -1, vcc_lo
	;; [unrolled: 2-line block ×3, first 2 shown]
	v_cmp_eq_u32_e32 vcc_lo, s7, v7
	v_cndmask_b32_e32 v7, v12, v11, vcc_lo
	v_cmp_eq_u32_e32 vcc_lo, s7, v14
	v_add_nc_u64_e32 v[10:11], 2, v[2:3]
	v_add_nc_u64_e32 v[12:13], 1, v[2:3]
	v_cndmask_b32_e32 v14, v16, v15, vcc_lo
	v_cmp_ne_u32_e32 vcc_lo, 0, v7
	s_delay_alu instid0(VALU_DEP_2) | instskip(NEXT) | instid1(VALU_DEP_4)
	v_cmp_ne_u32_e64 s2, 0, v14
	v_dual_cndmask_b32 v10, v12, v10 :: v_dual_cndmask_b32 v7, v13, v11
	s_delay_alu instid0(VALU_DEP_1) | instskip(SKIP_1) | instid1(VALU_DEP_2)
	v_dual_cndmask_b32 v2, v2, v10, s2 :: v_dual_cndmask_b32 v3, v3, v7, s2
	v_mov_b32_e32 v7, v6
	v_xor_b32_e32 v2, v2, v6
	s_delay_alu instid0(VALU_DEP_3) | instskip(NEXT) | instid1(VALU_DEP_1)
	v_xor_b32_e32 v3, v3, v6
	v_sub_nc_u64_e32 v[2:3], v[2:3], v[6:7]
.LBB1_11:
	s_and_not1_saveexec_b32 s2, s12
	s_cbranch_execz .LBB1_13
; %bb.12:
	v_cvt_f32_u32_e32 v2, s10
	s_sub_co_i32 s4, 0, s10
	s_delay_alu instid0(VALU_DEP_1) | instskip(SKIP_1) | instid1(TRANS32_DEP_1)
	v_rcp_iflag_f32_e32 v2, v2
	v_nop
	v_mul_f32_e32 v2, 0x4f7ffffe, v2
	s_delay_alu instid0(VALU_DEP_1) | instskip(NEXT) | instid1(VALU_DEP_1)
	v_cvt_u32_f32_e32 v2, v2
	v_mul_lo_u32 v3, s4, v2
	s_delay_alu instid0(VALU_DEP_1) | instskip(NEXT) | instid1(VALU_DEP_1)
	v_mul_hi_u32 v3, v2, v3
	v_add_nc_u32_e32 v2, v2, v3
	s_delay_alu instid0(VALU_DEP_1) | instskip(NEXT) | instid1(VALU_DEP_1)
	v_mul_hi_u32 v2, v4, v2
	v_mul_lo_u32 v3, v2, s10
	s_delay_alu instid0(VALU_DEP_1) | instskip(NEXT) | instid1(VALU_DEP_1)
	v_sub_nc_u32_e32 v3, v4, v3
	v_subrev_nc_u32_e32 v7, s10, v3
	v_cmp_le_u32_e32 vcc_lo, s10, v3
	s_delay_alu instid0(VALU_DEP_2) | instskip(NEXT) | instid1(VALU_DEP_1)
	v_dual_cndmask_b32 v3, v3, v7 :: v_dual_add_nc_u32 v6, 1, v2
	v_cndmask_b32_e32 v2, v2, v6, vcc_lo
	s_delay_alu instid0(VALU_DEP_2) | instskip(NEXT) | instid1(VALU_DEP_2)
	v_cmp_le_u32_e32 vcc_lo, s10, v3
	v_dual_mov_b32 v3, 0 :: v_dual_add_nc_u32 v6, 1, v2
	s_delay_alu instid0(VALU_DEP_1)
	v_cndmask_b32_e32 v2, v2, v6, vcc_lo
.LBB1_13:
	s_or_b32 exec_lo, exec_lo, s2
	v_mul_u64_e32 v[6:7], s[8:9], v[8:9]
	s_clause 0x2
	s_load_b256 s[4:11], s[0:1], 0xe0
	s_load_b64 s[12:13], s[0:1], 0x100
	s_load_b64 s[14:15], s[0:1], 0xb0
	s_lshr_b32 s2, ttmp7, 16
	s_wait_kmcnt 0x0
	v_mul_u64_e32 v[8:9], s[8:9], v[2:3]
	s_bfe_u32 s8, ttmp6, 0x40014
	s_bfe_u32 s9, ttmp6, 0x40010
	s_add_co_i32 s8, s8, 1
	s_add_co_i32 s9, s9, 1
	s_mul_i32 s8, s2, s8
	s_delay_alu instid0(VALU_DEP_2) | instskip(SKIP_4) | instid1(VALU_DEP_2)
	v_sub_nc_u64_e32 v[4:5], v[4:5], v[6:7]
	v_mul_u64_e32 v[6:7], s[10:11], v[0:1]
	s_bfe_u32 s10, ttmp6, 0x40008
	s_bfe_u32 s11, ttmp6, 0x40004
	s_add_co_i32 s10, s10, s8
	v_mul_u64_e32 v[10:11], s[12:13], v[4:5]
	s_and_b32 s12, ttmp7, 0xffff
	s_delay_alu instid0(SALU_CYCLE_1) | instskip(NEXT) | instid1(SALU_CYCLE_1)
	s_mul_i32 s9, s12, s9
	s_add_co_i32 s8, s11, s9
	s_cmp_eq_u32 s3, 0
	s_mov_b32 s9, 0
	s_cselect_b32 s10, s2, s10
	s_mov_b32 s11, s9
	s_cselect_b32 s8, s12, s8
	s_mul_u64 s[2:3], s[4:5], s[10:11]
	s_mul_u64 s[4:5], s[6:7], s[8:9]
	s_lshl_b64 s[2:3], s[2:3], 3
	s_lshl_b64 s[4:5], s[4:5], 3
	s_add_nc_u64 s[2:3], s[14:15], s[2:3]
	s_delay_alu instid0(SALU_CYCLE_1)
	s_add_nc_u64 s[2:3], s[2:3], s[4:5]
	s_delay_alu instid0(VALU_DEP_4) | instid1(SALU_CYCLE_1)
	v_lshl_add_u64 v[8:9], v[8:9], 3, s[2:3]
	s_mov_b32 s2, exec_lo
	s_delay_alu instid0(VALU_DEP_1) | instskip(NEXT) | instid1(VALU_DEP_1)
	v_lshl_add_u64 v[6:7], v[6:7], 3, v[8:9]
	v_lshl_add_u64 v[6:7], v[10:11], 3, v[6:7]
	global_load_b64 v[6:7], v[6:7], off
	s_wait_loadcnt 0x0
	v_cmpx_lt_i64_e32 -1, v[6:7]
	s_xor_b32 s3, exec_lo, s2
	s_cbranch_execz .LBB1_30
; %bb.14:
	s_load_b128 s[4:7], s[0:1], 0x20
                                        ; implicit-def: $vgpr8_vgpr9
	s_mov_b32 s2, exec_lo
	v_mov_b32_e32 v10, 0
	s_wait_kmcnt 0x0
	s_mul_u64 s[12:13], s[4:5], s[6:7]
	s_delay_alu instid0(SALU_CYCLE_1) | instskip(NEXT) | instid1(VALU_DEP_1)
	v_or_b32_e32 v11, s13, v7
	v_cmpx_ne_u64_e32 0, v[10:11]
	s_xor_b32 s18, exec_lo, s2
	s_cbranch_execz .LBB1_16
; %bb.15:
	s_ashr_i32 s14, s13, 31
	s_mov_b32 s27, 0
	s_mov_b32 s15, s14
	v_dual_mov_b32 v15, v10 :: v_dual_ashrrev_i32 v8, 31, v7
	s_add_nc_u64 s[16:17], s[12:13], s[14:15]
	v_mov_b32_e32 v17, v10
	s_xor_b64 s[16:17], s[16:17], s[14:15]
	s_delay_alu instid0(VALU_DEP_2)
	v_mov_b32_e32 v9, v8
	s_cvt_f32_u32 s2, s16
	s_cvt_f32_u32 s13, s17
	s_sub_nc_u64 s[22:23], 0, s[16:17]
	v_mov_b32_e32 v23, v10
	v_add_nc_u64_e32 v[12:13], v[6:7], v[8:9]
	s_fmamk_f32 s2, s13, 0x4f800000, s2
	v_mov_b32_e32 v11, v10
	s_delay_alu instid0(SALU_CYCLE_2) | instskip(NEXT) | instid1(VALU_DEP_2)
	v_s_rcp_f32 s2, s2
	v_xor_b32_e32 v14, v12, v8
	s_delay_alu instid0(VALU_DEP_3) | instskip(SKIP_1) | instid1(TRANS32_DEP_1)
	v_xor_b32_e32 v16, v13, v8
	v_xor_b32_e32 v8, s14, v8
	s_mul_f32 s2, s2, 0x5f7ffffc
	s_delay_alu instid0(SALU_CYCLE_3) | instskip(NEXT) | instid1(SALU_CYCLE_3)
	s_mul_f32 s13, s2, 0x2f800000
	s_trunc_f32 s13, s13
	s_delay_alu instid0(SALU_CYCLE_3) | instskip(SKIP_1) | instid1(SALU_CYCLE_2)
	s_fmamk_f32 s2, s13, 0xcf800000, s2
	s_cvt_u32_f32 s21, s13
	s_cvt_u32_f32 s20, s2
	s_delay_alu instid0(SALU_CYCLE_3) | instskip(NEXT) | instid1(SALU_CYCLE_1)
	s_mul_u64 s[24:25], s[22:23], s[20:21]
	s_mul_hi_u32 s29, s20, s25
	s_mul_i32 s28, s20, s25
	s_mul_hi_u32 s26, s20, s24
	s_mul_i32 s13, s21, s24
	s_add_nc_u64 s[28:29], s[26:27], s[28:29]
	s_mul_hi_u32 s2, s21, s24
	s_mul_hi_u32 s15, s21, s25
	s_add_co_u32 s13, s28, s13
	s_add_co_ci_u32 s26, s29, s2
	s_mul_i32 s24, s21, s25
	s_add_co_ci_u32 s25, s15, 0
	s_delay_alu instid0(SALU_CYCLE_1) | instskip(NEXT) | instid1(SALU_CYCLE_1)
	s_add_nc_u64 s[24:25], s[26:27], s[24:25]
	s_add_co_u32 s20, s20, s24
	s_cselect_b32 s2, -1, 0
	s_delay_alu instid0(SALU_CYCLE_1) | instskip(SKIP_1) | instid1(SALU_CYCLE_1)
	s_cmp_lg_u32 s2, 0
	s_add_co_ci_u32 s21, s21, s25
	s_mul_u64 s[22:23], s[22:23], s[20:21]
	s_delay_alu instid0(SALU_CYCLE_1)
	s_mul_hi_u32 s25, s20, s23
	s_mul_i32 s24, s20, s23
	s_mul_hi_u32 s26, s20, s22
	s_mul_i32 s13, s21, s22
	s_add_nc_u64 s[24:25], s[26:27], s[24:25]
	s_mul_hi_u32 s2, s21, s22
	s_mul_hi_u32 s15, s21, s23
	s_add_co_u32 s13, s24, s13
	s_add_co_ci_u32 s26, s25, s2
	s_mul_i32 s22, s21, s23
	s_add_co_ci_u32 s23, s15, 0
	s_delay_alu instid0(SALU_CYCLE_1) | instskip(NEXT) | instid1(SALU_CYCLE_1)
	s_add_nc_u64 s[22:23], s[26:27], s[22:23]
	s_add_co_u32 s2, s20, s22
	s_cselect_b32 s13, -1, 0
	v_mul_hi_u32 v22, v14, s2
	s_cmp_lg_u32 s13, 0
	s_add_co_ci_u32 s26, s21, s23
	s_mov_b64 s[20:21], 0xffffffff
	v_mul_u64_e32 v[18:19], s[26:27], v[14:15]
	s_and_b64 s[20:21], s[2:3], s[20:21]
	v_mul_u64_e32 v[20:21], s[26:27], v[16:17]
	v_mul_u64_e32 v[12:13], s[20:21], v[16:17]
	s_delay_alu instid0(VALU_DEP_3) | instskip(NEXT) | instid1(VALU_DEP_1)
	v_add_nc_u64_e32 v[18:19], v[22:23], v[18:19]
	v_add_co_u32 v9, vcc_lo, v18, v12
	s_delay_alu instid0(VALU_DEP_2) | instskip(SKIP_1) | instid1(VALU_DEP_1)
	v_add_co_ci_u32_e32 v10, vcc_lo, v19, v13, vcc_lo
	v_add_co_ci_u32_e32 v21, vcc_lo, 0, v21, vcc_lo
	v_add_nc_u64_e32 v[10:11], v[10:11], v[20:21]
	s_delay_alu instid0(VALU_DEP_1) | instskip(NEXT) | instid1(VALU_DEP_1)
	v_mul_u64_e32 v[12:13], s[16:17], v[10:11]
	v_sub_nc_u32_e32 v9, v16, v13
	s_delay_alu instid0(VALU_DEP_2) | instskip(NEXT) | instid1(VALU_DEP_1)
	v_sub_co_u32 v12, vcc_lo, v14, v12
	v_sub_co_ci_u32_e64 v16, null, v16, v13, vcc_lo
	s_delay_alu instid0(VALU_DEP_3) | instskip(NEXT) | instid1(VALU_DEP_3)
	v_subrev_co_ci_u32_e64 v9, null, s17, v9, vcc_lo
	v_sub_co_u32 v14, s2, v12, s16
	s_delay_alu instid0(VALU_DEP_1) | instskip(NEXT) | instid1(VALU_DEP_2)
	v_subrev_co_ci_u32_e64 v9, null, 0, v9, s2
	v_cmp_le_u32_e32 vcc_lo, s16, v14
	v_cndmask_b32_e64 v13, 0, -1, vcc_lo
	s_delay_alu instid0(VALU_DEP_3)
	v_cmp_le_u32_e32 vcc_lo, s17, v9
	v_cndmask_b32_e64 v14, 0, -1, vcc_lo
	v_cmp_le_u32_e32 vcc_lo, s16, v12
	v_cndmask_b32_e64 v17, 0, -1, vcc_lo
	;; [unrolled: 2-line block ×3, first 2 shown]
	v_cmp_eq_u32_e32 vcc_lo, s17, v9
	v_cndmask_b32_e32 v9, v14, v13, vcc_lo
	v_cmp_eq_u32_e32 vcc_lo, s17, v16
	v_add_nc_u64_e32 v[12:13], 2, v[10:11]
	v_add_nc_u64_e32 v[14:15], 1, v[10:11]
	v_cndmask_b32_e32 v16, v18, v17, vcc_lo
	v_cmp_ne_u32_e32 vcc_lo, 0, v9
	s_delay_alu instid0(VALU_DEP_2) | instskip(NEXT) | instid1(VALU_DEP_4)
	v_cmp_ne_u32_e64 s2, 0, v16
	v_dual_cndmask_b32 v12, v14, v12 :: v_dual_cndmask_b32 v9, v15, v13
	s_delay_alu instid0(VALU_DEP_1) | instskip(NEXT) | instid1(VALU_DEP_1)
	v_dual_cndmask_b32 v10, v10, v12, s2 :: v_dual_cndmask_b32 v11, v11, v9, s2
	v_dual_mov_b32 v9, v8 :: v_dual_bitop2_b32 v10, v10, v8 bitop3:0x14
	s_delay_alu instid0(VALU_DEP_2) | instskip(NEXT) | instid1(VALU_DEP_1)
	v_xor_b32_e32 v11, v11, v8
	v_sub_nc_u64_e32 v[8:9], v[10:11], v[8:9]
.LBB1_16:
	s_and_not1_saveexec_b32 s2, s18
	s_cbranch_execz .LBB1_18
; %bb.17:
	v_cvt_f32_u32_e32 v8, s12
	s_sub_co_i32 s13, 0, s12
	s_delay_alu instid0(VALU_DEP_1) | instskip(SKIP_1) | instid1(TRANS32_DEP_1)
	v_rcp_iflag_f32_e32 v8, v8
	v_nop
	v_mul_f32_e32 v8, 0x4f7ffffe, v8
	s_delay_alu instid0(VALU_DEP_1) | instskip(NEXT) | instid1(VALU_DEP_1)
	v_cvt_u32_f32_e32 v8, v8
	v_mul_lo_u32 v9, s13, v8
	s_delay_alu instid0(VALU_DEP_1) | instskip(NEXT) | instid1(VALU_DEP_1)
	v_mul_hi_u32 v9, v8, v9
	v_add_nc_u32_e32 v8, v8, v9
	s_delay_alu instid0(VALU_DEP_1) | instskip(NEXT) | instid1(VALU_DEP_1)
	v_mul_hi_u32 v8, v6, v8
	v_mul_lo_u32 v9, v8, s12
	s_delay_alu instid0(VALU_DEP_1) | instskip(NEXT) | instid1(VALU_DEP_1)
	v_dual_add_nc_u32 v10, 1, v8 :: v_dual_sub_nc_u32 v9, v6, v9
	v_subrev_nc_u32_e32 v11, s12, v9
	v_cmp_le_u32_e32 vcc_lo, s12, v9
	s_delay_alu instid0(VALU_DEP_2) | instskip(NEXT) | instid1(VALU_DEP_1)
	v_dual_cndmask_b32 v9, v9, v11 :: v_dual_cndmask_b32 v8, v8, v10
	v_cmp_le_u32_e32 vcc_lo, s12, v9
	s_delay_alu instid0(VALU_DEP_2) | instskip(NEXT) | instid1(VALU_DEP_1)
	v_dual_mov_b32 v9, 0 :: v_dual_add_nc_u32 v10, 1, v8
	v_cndmask_b32_e32 v8, v8, v10, vcc_lo
.LBB1_18:
	s_or_b32 exec_lo, exec_lo, s2
	s_load_b64 s[12:13], s[0:1], 0x18
	s_mov_b32 s16, 0
	s_mov_b32 s2, exec_lo
	s_wait_kmcnt 0x0
	v_cmpx_le_i64_e64 s[12:13], v[8:9]
	s_xor_b32 s2, exec_lo, s2
	s_cbranch_execnz .LBB1_35
; %bb.19:
	s_and_not1_saveexec_b32 s17, s2
	s_cbranch_execz .LBB1_29
.LBB1_20:
	v_dual_mov_b32 v12, 0 :: v_dual_bitop2_b32 v13, s7, v7 bitop3:0x54
                                        ; implicit-def: $vgpr10_vgpr11
	s_mov_b32 s2, exec_lo
	s_delay_alu instid0(VALU_DEP_1)
	v_cmpx_ne_u64_e32 0, v[12:13]
	s_xor_b32 s18, exec_lo, s2
	s_cbranch_execz .LBB1_22
; %bb.21:
	s_ashr_i32 s12, s7, 31
	s_mov_b32 s27, 0
	s_mov_b32 s13, s12
	v_dual_mov_b32 v17, v12 :: v_dual_ashrrev_i32 v10, 31, v7
	s_add_nc_u64 s[14:15], s[6:7], s[12:13]
	v_mov_b32_e32 v19, v12
	s_xor_b64 s[14:15], s[14:15], s[12:13]
	s_delay_alu instid0(VALU_DEP_2)
	v_mov_b32_e32 v11, v10
	s_cvt_f32_u32 s2, s14
	s_cvt_f32_u32 s13, s15
	s_sub_nc_u64 s[22:23], 0, s[14:15]
	v_mov_b32_e32 v25, v12
	v_add_nc_u64_e32 v[14:15], v[6:7], v[10:11]
	s_fmamk_f32 s2, s13, 0x4f800000, s2
	v_mov_b32_e32 v13, v12
	s_delay_alu instid0(SALU_CYCLE_2) | instskip(NEXT) | instid1(VALU_DEP_2)
	v_s_rcp_f32 s2, s2
	v_xor_b32_e32 v16, v14, v10
	s_delay_alu instid0(VALU_DEP_3) | instskip(SKIP_1) | instid1(TRANS32_DEP_1)
	v_xor_b32_e32 v18, v15, v10
	v_xor_b32_e32 v10, s12, v10
	s_mul_f32 s2, s2, 0x5f7ffffc
	s_delay_alu instid0(SALU_CYCLE_3) | instskip(NEXT) | instid1(SALU_CYCLE_3)
	s_mul_f32 s13, s2, 0x2f800000
	s_trunc_f32 s13, s13
	s_delay_alu instid0(SALU_CYCLE_3) | instskip(SKIP_1) | instid1(SALU_CYCLE_2)
	s_fmamk_f32 s2, s13, 0xcf800000, s2
	s_cvt_u32_f32 s21, s13
	s_cvt_u32_f32 s20, s2
	s_delay_alu instid0(SALU_CYCLE_3) | instskip(NEXT) | instid1(SALU_CYCLE_1)
	s_mul_u64 s[24:25], s[22:23], s[20:21]
	s_mul_hi_u32 s29, s20, s25
	s_mul_i32 s28, s20, s25
	s_mul_hi_u32 s26, s20, s24
	s_mul_i32 s13, s21, s24
	s_add_nc_u64 s[28:29], s[26:27], s[28:29]
	s_mul_hi_u32 s2, s21, s24
	s_mul_hi_u32 s19, s21, s25
	s_add_co_u32 s13, s28, s13
	s_add_co_ci_u32 s26, s29, s2
	s_mul_i32 s24, s21, s25
	s_add_co_ci_u32 s25, s19, 0
	s_delay_alu instid0(SALU_CYCLE_1) | instskip(NEXT) | instid1(SALU_CYCLE_1)
	s_add_nc_u64 s[24:25], s[26:27], s[24:25]
	s_add_co_u32 s20, s20, s24
	s_cselect_b32 s2, -1, 0
	s_delay_alu instid0(SALU_CYCLE_1) | instskip(SKIP_1) | instid1(SALU_CYCLE_1)
	s_cmp_lg_u32 s2, 0
	s_add_co_ci_u32 s21, s21, s25
	s_mul_u64 s[22:23], s[22:23], s[20:21]
	s_delay_alu instid0(SALU_CYCLE_1)
	s_mul_hi_u32 s25, s20, s23
	s_mul_i32 s24, s20, s23
	s_mul_hi_u32 s26, s20, s22
	s_mul_i32 s13, s21, s22
	s_add_nc_u64 s[24:25], s[26:27], s[24:25]
	s_mul_hi_u32 s2, s21, s22
	s_mul_hi_u32 s19, s21, s23
	s_add_co_u32 s13, s24, s13
	s_add_co_ci_u32 s26, s25, s2
	s_mul_i32 s22, s21, s23
	s_add_co_ci_u32 s23, s19, 0
	s_delay_alu instid0(SALU_CYCLE_1) | instskip(NEXT) | instid1(SALU_CYCLE_1)
	s_add_nc_u64 s[22:23], s[26:27], s[22:23]
	s_add_co_u32 s2, s20, s22
	s_cselect_b32 s13, -1, 0
	v_mul_hi_u32 v24, v16, s2
	s_cmp_lg_u32 s13, 0
	s_add_co_ci_u32 s26, s21, s23
	s_mov_b64 s[20:21], 0xffffffff
	v_mul_u64_e32 v[20:21], s[26:27], v[16:17]
	s_and_b64 s[20:21], s[2:3], s[20:21]
	v_mul_u64_e32 v[22:23], s[26:27], v[18:19]
	v_mul_u64_e32 v[14:15], s[20:21], v[18:19]
	s_delay_alu instid0(VALU_DEP_3) | instskip(NEXT) | instid1(VALU_DEP_1)
	v_add_nc_u64_e32 v[20:21], v[24:25], v[20:21]
	v_add_co_u32 v11, vcc_lo, v20, v14
	s_delay_alu instid0(VALU_DEP_2) | instskip(SKIP_1) | instid1(VALU_DEP_1)
	v_add_co_ci_u32_e32 v12, vcc_lo, v21, v15, vcc_lo
	v_add_co_ci_u32_e32 v23, vcc_lo, 0, v23, vcc_lo
	v_add_nc_u64_e32 v[12:13], v[12:13], v[22:23]
	s_delay_alu instid0(VALU_DEP_1) | instskip(NEXT) | instid1(VALU_DEP_1)
	v_mul_u64_e32 v[14:15], s[14:15], v[12:13]
	v_sub_nc_u32_e32 v11, v18, v15
	s_delay_alu instid0(VALU_DEP_2) | instskip(NEXT) | instid1(VALU_DEP_1)
	v_sub_co_u32 v14, vcc_lo, v16, v14
	v_sub_co_ci_u32_e64 v18, null, v18, v15, vcc_lo
	s_delay_alu instid0(VALU_DEP_3) | instskip(NEXT) | instid1(VALU_DEP_3)
	v_subrev_co_ci_u32_e64 v11, null, s15, v11, vcc_lo
	v_sub_co_u32 v16, s2, v14, s14
	s_delay_alu instid0(VALU_DEP_1) | instskip(NEXT) | instid1(VALU_DEP_2)
	v_subrev_co_ci_u32_e64 v11, null, 0, v11, s2
	v_cmp_le_u32_e32 vcc_lo, s14, v16
	v_cndmask_b32_e64 v15, 0, -1, vcc_lo
	s_delay_alu instid0(VALU_DEP_3)
	v_cmp_le_u32_e32 vcc_lo, s15, v11
	v_cndmask_b32_e64 v16, 0, -1, vcc_lo
	v_cmp_le_u32_e32 vcc_lo, s14, v14
	v_cndmask_b32_e64 v19, 0, -1, vcc_lo
	;; [unrolled: 2-line block ×3, first 2 shown]
	v_cmp_eq_u32_e32 vcc_lo, s15, v11
	v_cndmask_b32_e32 v11, v16, v15, vcc_lo
	v_cmp_eq_u32_e32 vcc_lo, s15, v18
	v_add_nc_u64_e32 v[14:15], 2, v[12:13]
	v_add_nc_u64_e32 v[16:17], 1, v[12:13]
	v_cndmask_b32_e32 v18, v20, v19, vcc_lo
	v_cmp_ne_u32_e32 vcc_lo, 0, v11
	s_delay_alu instid0(VALU_DEP_2) | instskip(NEXT) | instid1(VALU_DEP_4)
	v_cmp_ne_u32_e64 s2, 0, v18
	v_dual_cndmask_b32 v14, v16, v14 :: v_dual_cndmask_b32 v11, v17, v15
	s_delay_alu instid0(VALU_DEP_1) | instskip(NEXT) | instid1(VALU_DEP_1)
	v_dual_cndmask_b32 v12, v12, v14, s2 :: v_dual_cndmask_b32 v13, v13, v11, s2
	v_dual_mov_b32 v11, v10 :: v_dual_bitop2_b32 v12, v12, v10 bitop3:0x14
	s_delay_alu instid0(VALU_DEP_2) | instskip(NEXT) | instid1(VALU_DEP_1)
	v_xor_b32_e32 v13, v13, v10
	v_sub_nc_u64_e32 v[10:11], v[12:13], v[10:11]
.LBB1_22:
	s_and_not1_saveexec_b32 s2, s18
	s_cbranch_execz .LBB1_24
; %bb.23:
	v_cvt_f32_u32_e32 v10, s6
	s_sub_co_i32 s12, 0, s6
	s_delay_alu instid0(VALU_DEP_1) | instskip(SKIP_1) | instid1(TRANS32_DEP_1)
	v_rcp_iflag_f32_e32 v10, v10
	v_nop
	v_mul_f32_e32 v10, 0x4f7ffffe, v10
	s_delay_alu instid0(VALU_DEP_1) | instskip(NEXT) | instid1(VALU_DEP_1)
	v_cvt_u32_f32_e32 v10, v10
	v_mul_lo_u32 v11, s12, v10
	s_delay_alu instid0(VALU_DEP_1) | instskip(NEXT) | instid1(VALU_DEP_1)
	v_mul_hi_u32 v11, v10, v11
	v_add_nc_u32_e32 v10, v10, v11
	s_delay_alu instid0(VALU_DEP_1) | instskip(NEXT) | instid1(VALU_DEP_1)
	v_mul_hi_u32 v10, v6, v10
	v_mul_lo_u32 v11, v10, s6
	s_delay_alu instid0(VALU_DEP_1) | instskip(NEXT) | instid1(VALU_DEP_1)
	v_dual_add_nc_u32 v12, 1, v10 :: v_dual_sub_nc_u32 v11, v6, v11
	v_subrev_nc_u32_e32 v13, s6, v11
	v_cmp_le_u32_e32 vcc_lo, s6, v11
	s_delay_alu instid0(VALU_DEP_2) | instskip(NEXT) | instid1(VALU_DEP_1)
	v_dual_cndmask_b32 v11, v11, v13 :: v_dual_cndmask_b32 v10, v10, v12
	v_cmp_le_u32_e32 vcc_lo, s6, v11
	s_delay_alu instid0(VALU_DEP_2) | instskip(NEXT) | instid1(VALU_DEP_1)
	v_dual_mov_b32 v11, 0 :: v_dual_add_nc_u32 v12, 1, v10
	v_cndmask_b32_e32 v10, v10, v12, vcc_lo
.LBB1_24:
	s_or_b32 exec_lo, exec_lo, s2
	s_delay_alu instid0(VALU_DEP_1) | instskip(SKIP_1) | instid1(VALU_DEP_1)
	v_dual_mov_b32 v12, 0 :: v_dual_bitop2_b32 v13, s5, v11 bitop3:0x54
                                        ; implicit-def: $vgpr14_vgpr15
	s_mov_b32 s2, exec_lo
	v_cmpx_ne_u64_e32 0, v[12:13]
	s_xor_b32 s14, exec_lo, s2
	s_cbranch_execz .LBB1_26
; %bb.25:
	s_ashr_i32 s12, s5, 31
	s_mov_b32 s25, 0
	s_mov_b32 s13, s12
	v_dual_mov_b32 v19, v12 :: v_dual_ashrrev_i32 v14, 31, v11
	s_add_nc_u64 s[18:19], s[4:5], s[12:13]
	v_dual_mov_b32 v27, v12 :: v_dual_mov_b32 v13, v12
	s_xor_b64 s[12:13], s[18:19], s[12:13]
	s_delay_alu instid0(VALU_DEP_2) | instskip(SKIP_3) | instid1(VALU_DEP_1)
	v_mov_b32_e32 v15, v14
	s_cvt_f32_u32 s2, s12
	s_cvt_f32_u32 s5, s13
	s_sub_nc_u64 s[20:21], 0, s[12:13]
	v_add_nc_u64_e32 v[16:17], v[10:11], v[14:15]
	s_delay_alu instid0(SALU_CYCLE_1) | instskip(SKIP_1) | instid1(SALU_CYCLE_2)
	s_fmamk_f32 s2, s5, 0x4f800000, s2
	v_mov_b32_e32 v21, v12
	v_s_rcp_f32 s2, s2
	s_delay_alu instid0(VALU_DEP_2) | instskip(NEXT) | instid1(VALU_DEP_3)
	v_xor_b32_e32 v18, v16, v14
	v_xor_b32_e32 v20, v17, v14
	s_delay_alu instid0(TRANS32_DEP_1) | instskip(NEXT) | instid1(SALU_CYCLE_3)
	s_mul_f32 s2, s2, 0x5f7ffffc
	s_mul_f32 s5, s2, 0x2f800000
	s_delay_alu instid0(SALU_CYCLE_3) | instskip(NEXT) | instid1(SALU_CYCLE_3)
	s_trunc_f32 s5, s5
	s_fmamk_f32 s2, s5, 0xcf800000, s2
	s_cvt_u32_f32 s19, s5
	s_delay_alu instid0(SALU_CYCLE_2) | instskip(NEXT) | instid1(SALU_CYCLE_3)
	s_cvt_u32_f32 s18, s2
	s_mul_u64 s[22:23], s[20:21], s[18:19]
	s_delay_alu instid0(SALU_CYCLE_1)
	s_mul_hi_u32 s27, s18, s23
	s_mul_i32 s26, s18, s23
	s_mul_hi_u32 s24, s18, s22
	s_mul_i32 s5, s19, s22
	s_add_nc_u64 s[26:27], s[24:25], s[26:27]
	s_mul_hi_u32 s2, s19, s22
	s_mul_hi_u32 s15, s19, s23
	s_add_co_u32 s5, s26, s5
	s_add_co_ci_u32 s24, s27, s2
	s_mul_i32 s22, s19, s23
	s_add_co_ci_u32 s23, s15, 0
	s_delay_alu instid0(SALU_CYCLE_1) | instskip(NEXT) | instid1(SALU_CYCLE_1)
	s_add_nc_u64 s[22:23], s[24:25], s[22:23]
	s_add_co_u32 s18, s18, s22
	s_cselect_b32 s2, -1, 0
	s_delay_alu instid0(SALU_CYCLE_1) | instskip(SKIP_1) | instid1(SALU_CYCLE_1)
	s_cmp_lg_u32 s2, 0
	s_add_co_ci_u32 s19, s19, s23
	s_mul_u64 s[20:21], s[20:21], s[18:19]
	s_delay_alu instid0(SALU_CYCLE_1)
	s_mul_hi_u32 s23, s18, s21
	s_mul_i32 s22, s18, s21
	s_mul_hi_u32 s24, s18, s20
	s_mul_i32 s5, s19, s20
	s_add_nc_u64 s[22:23], s[24:25], s[22:23]
	s_mul_hi_u32 s2, s19, s20
	s_mul_hi_u32 s15, s19, s21
	s_add_co_u32 s5, s22, s5
	s_add_co_ci_u32 s24, s23, s2
	s_mul_i32 s20, s19, s21
	s_add_co_ci_u32 s21, s15, 0
	s_delay_alu instid0(SALU_CYCLE_1) | instskip(NEXT) | instid1(SALU_CYCLE_1)
	s_add_nc_u64 s[20:21], s[24:25], s[20:21]
	s_add_co_u32 s2, s18, s20
	s_cselect_b32 s5, -1, 0
	v_mul_hi_u32 v26, v18, s2
	s_cmp_lg_u32 s5, 0
	s_add_co_ci_u32 s24, s19, s21
	s_mov_b64 s[18:19], 0xffffffff
	v_mul_u64_e32 v[22:23], s[24:25], v[18:19]
	s_and_b64 s[18:19], s[2:3], s[18:19]
	v_mul_u64_e32 v[24:25], s[24:25], v[20:21]
	v_mul_u64_e32 v[16:17], s[18:19], v[20:21]
	s_delay_alu instid0(VALU_DEP_3) | instskip(NEXT) | instid1(VALU_DEP_1)
	v_add_nc_u64_e32 v[22:23], v[26:27], v[22:23]
	v_add_co_u32 v12, vcc_lo, v22, v16
	s_delay_alu instid0(VALU_DEP_2) | instskip(SKIP_1) | instid1(VALU_DEP_1)
	v_add_co_ci_u32_e32 v12, vcc_lo, v23, v17, vcc_lo
	v_add_co_ci_u32_e32 v25, vcc_lo, 0, v25, vcc_lo
	v_add_nc_u64_e32 v[12:13], v[12:13], v[24:25]
	s_delay_alu instid0(VALU_DEP_1) | instskip(NEXT) | instid1(VALU_DEP_1)
	v_mul_u64_e32 v[12:13], s[12:13], v[12:13]
	v_sub_nc_u32_e32 v16, v20, v13
	s_delay_alu instid0(VALU_DEP_2) | instskip(NEXT) | instid1(VALU_DEP_1)
	v_sub_co_u32 v12, vcc_lo, v18, v12
	v_sub_co_ci_u32_e64 v13, null, v20, v13, vcc_lo
	s_delay_alu instid0(VALU_DEP_3) | instskip(NEXT) | instid1(VALU_DEP_3)
	v_subrev_co_ci_u32_e64 v16, null, s13, v16, vcc_lo
	v_sub_co_u32 v17, vcc_lo, v12, s12
	v_cmp_le_u32_e64 s2, s12, v12
	s_delay_alu instid0(VALU_DEP_3) | instskip(SKIP_1) | instid1(VALU_DEP_3)
	v_subrev_co_ci_u32_e64 v18, null, 0, v16, vcc_lo
	v_subrev_co_ci_u32_e64 v16, null, s13, v16, vcc_lo
	v_cndmask_b32_e64 v19, 0, -1, s2
	v_cmp_le_u32_e64 s2, s12, v17
	v_cmp_le_u32_e32 vcc_lo, s13, v13
	s_delay_alu instid0(VALU_DEP_2) | instskip(SKIP_3) | instid1(VALU_DEP_3)
	v_cndmask_b32_e64 v20, 0, -1, s2
	v_cmp_le_u32_e64 s2, s13, v18
	v_cndmask_b32_e64 v22, 0, -1, vcc_lo
	v_cmp_eq_u32_e32 vcc_lo, s13, v18
	v_cndmask_b32_e64 v21, 0, -1, s2
	v_cmp_eq_u32_e64 s2, s13, v13
	s_delay_alu instid0(VALU_DEP_2) | instskip(SKIP_1) | instid1(VALU_DEP_1)
	v_cndmask_b32_e32 v20, v21, v20, vcc_lo
	v_sub_co_u32 v21, vcc_lo, v17, s12
	v_subrev_co_ci_u32_e64 v16, null, 0, v16, vcc_lo
	s_delay_alu instid0(VALU_DEP_3) | instskip(NEXT) | instid1(VALU_DEP_3)
	v_cmp_ne_u32_e32 vcc_lo, 0, v20
	v_dual_cndmask_b32 v19, v22, v19, s2 :: v_dual_cndmask_b32 v17, v17, v21, vcc_lo
	s_delay_alu instid0(VALU_DEP_3) | instskip(NEXT) | instid1(VALU_DEP_2)
	v_cndmask_b32_e32 v16, v18, v16, vcc_lo
	v_cmp_ne_u32_e32 vcc_lo, 0, v19
	s_delay_alu instid0(VALU_DEP_2) | instskip(NEXT) | instid1(VALU_DEP_1)
	v_dual_cndmask_b32 v12, v12, v17 :: v_dual_cndmask_b32 v13, v13, v16
	v_xor_b32_e32 v12, v12, v14
	s_delay_alu instid0(VALU_DEP_2) | instskip(NEXT) | instid1(VALU_DEP_1)
	v_xor_b32_e32 v13, v13, v14
	v_sub_nc_u64_e32 v[14:15], v[12:13], v[14:15]
.LBB1_26:
	s_and_not1_saveexec_b32 s2, s14
	s_cbranch_execz .LBB1_28
; %bb.27:
	v_cvt_f32_u32_e32 v12, s4
	s_sub_co_i32 s5, 0, s4
	v_mov_b32_e32 v15, 0
	s_delay_alu instid0(VALU_DEP_2) | instskip(SKIP_1) | instid1(TRANS32_DEP_1)
	v_rcp_iflag_f32_e32 v12, v12
	v_nop
	v_mul_f32_e32 v12, 0x4f7ffffe, v12
	s_delay_alu instid0(VALU_DEP_1) | instskip(NEXT) | instid1(VALU_DEP_1)
	v_cvt_u32_f32_e32 v12, v12
	v_mul_lo_u32 v13, s5, v12
	s_delay_alu instid0(VALU_DEP_1) | instskip(NEXT) | instid1(VALU_DEP_1)
	v_mul_hi_u32 v13, v12, v13
	v_add_nc_u32_e32 v12, v12, v13
	s_delay_alu instid0(VALU_DEP_1) | instskip(NEXT) | instid1(VALU_DEP_1)
	v_mul_hi_u32 v12, v10, v12
	v_mul_lo_u32 v12, v12, s4
	s_delay_alu instid0(VALU_DEP_1) | instskip(NEXT) | instid1(VALU_DEP_1)
	v_sub_nc_u32_e32 v12, v10, v12
	v_subrev_nc_u32_e32 v13, s4, v12
	v_cmp_le_u32_e32 vcc_lo, s4, v12
	s_delay_alu instid0(VALU_DEP_2) | instskip(NEXT) | instid1(VALU_DEP_1)
	v_cndmask_b32_e32 v12, v12, v13, vcc_lo
	v_subrev_nc_u32_e32 v13, s4, v12
	v_cmp_le_u32_e32 vcc_lo, s4, v12
	s_delay_alu instid0(VALU_DEP_2)
	v_cndmask_b32_e32 v14, v12, v13, vcc_lo
.LBB1_28:
	s_or_b32 exec_lo, exec_lo, s2
	s_clause 0x2
	s_load_b256 s[20:27], s[0:1], 0x88
	s_load_b64 s[4:5], s[0:1], 0xa8
	s_load_b128 s[12:15], s[0:1], 0x50
	s_wait_kmcnt 0x0
	v_mul_u64_e32 v[2:3], s[24:25], v[2:3]
	v_mul_u64_e32 v[0:1], s[26:27], v[0:1]
	;; [unrolled: 1-line block ×3, first 2 shown]
	s_mul_u64 s[4:5], s[20:21], s[10:11]
	s_mul_u64 s[18:19], s[22:23], s[8:9]
	s_lshl_b64 s[4:5], s[4:5], 2
	s_load_b256 s[20:27], s[0:1], 0x30
	s_add_nc_u64 s[4:5], s[14:15], s[4:5]
	s_lshl_b64 s[14:15], s[18:19], 2
	s_wait_xcnt 0x0
	s_load_b64 s[0:1], s[0:1], 0x0
	s_add_nc_u64 s[4:5], s[4:5], s[14:15]
	s_delay_alu instid0(VALU_DEP_3) | instid1(SALU_CYCLE_1)
	v_lshl_add_u64 v[2:3], v[2:3], 2, s[4:5]
	s_wait_kmcnt 0x0
	s_mul_u64 s[4:5], s[20:21], s[10:11]
	s_delay_alu instid0(SALU_CYCLE_1) | instskip(NEXT) | instid1(SALU_CYCLE_1)
	s_lshl_b64 s[4:5], s[4:5], 2
	s_add_nc_u64 s[0:1], s[0:1], s[4:5]
	s_delay_alu instid0(VALU_DEP_3) | instskip(SKIP_1) | instid1(VALU_DEP_2)
	v_lshl_add_u64 v[0:1], v[0:1], 2, v[2:3]
	v_mul_u64_e32 v[2:3], s[24:25], v[8:9]
	v_lshl_add_u64 v[0:1], v[4:5], 2, v[0:1]
	v_mul_u64_e32 v[4:5], s[26:27], v[14:15]
	global_load_b32 v12, v[0:1], off
	s_wait_xcnt 0x0
	v_mul_u64_e32 v[0:1], s[6:7], v[10:11]
	s_mul_u64 s[6:7], s[22:23], s[8:9]
	s_delay_alu instid0(SALU_CYCLE_1) | instskip(NEXT) | instid1(SALU_CYCLE_1)
	s_lshl_b64 s[4:5], s[6:7], 2
	s_add_nc_u64 s[0:1], s[0:1], s[4:5]
	s_delay_alu instid0(SALU_CYCLE_1) | instskip(NEXT) | instid1(VALU_DEP_1)
	v_lshl_add_u64 v[2:3], v[2:3], 2, s[0:1]
	v_lshl_add_u64 v[2:3], v[4:5], 2, v[2:3]
	s_delay_alu instid0(VALU_DEP_3) | instskip(NEXT) | instid1(VALU_DEP_1)
	v_sub_nc_u64_e32 v[0:1], v[6:7], v[0:1]
	v_mul_u64_e32 v[0:1], s[12:13], v[0:1]
	s_delay_alu instid0(VALU_DEP_1)
	v_lshl_add_u64 v[0:1], v[0:1], 2, v[2:3]
	s_wait_loadcnt 0x0
	global_atomic_add_f32 v[0:1], v12, off scope:SCOPE_DEV
.LBB1_29:
	s_wait_xcnt 0x0
	s_or_b32 exec_lo, exec_lo, s17
	s_delay_alu instid0(SALU_CYCLE_1)
	s_and_b32 s9, s16, exec_lo
.LBB1_30:
	s_and_not1_saveexec_b32 s0, s3
	s_cbranch_execnz .LBB1_34
; %bb.31:
	s_or_b32 exec_lo, exec_lo, s0
	s_delay_alu instid0(SALU_CYCLE_1)
	s_and_b32 exec_lo, exec_lo, s9
.LBB1_32:
	; divergent unreachable
.LBB1_33:
	s_endpgm
.LBB1_34:
	s_or_b32 s9, s9, exec_lo
	s_trap 2
	s_or_b32 exec_lo, exec_lo, s0
	s_delay_alu instid0(SALU_CYCLE_1)
	s_and_b32 exec_lo, exec_lo, s9
	s_cbranch_execnz .LBB1_32
	s_branch .LBB1_33
.LBB1_35:
	s_mov_b32 s16, exec_lo
	s_trap 2
                                        ; implicit-def: $vgpr6_vgpr7
                                        ; implicit-def: $vgpr8_vgpr9
                                        ; implicit-def: $vgpr2_vgpr3
                                        ; implicit-def: $vgpr0_vgpr1
                                        ; implicit-def: $vgpr4_vgpr5
	s_and_not1_saveexec_b32 s17, s2
	s_cbranch_execnz .LBB1_20
	s_branch .LBB1_29
	.section	.rodata,"a",@progbits
	.p2align	6, 0x0
	.amdhsa_kernel _ZN2at6native12_GLOBAL__N_140fractional_max_pool3d_backward_out_frameIfEEvN5torch10headeronly6detail27GenericPackedTensorAccessorINS5_14TensorAccessorIN3c108ArrayRefIlEET_Lm4ENS4_16DefaultPtrTraitsElEENS_6detail16IndexBoundsCheckILm5ElEESB_Lm5ESC_lEENS6_INS7_ISA_KSB_Lm4ESC_lEESG_SI_Lm5ESC_lEENS6_INS7_ISA_KlLm4ESC_lEESG_SL_Lm5ESC_lEE
		.amdhsa_group_segment_fixed_size 0
		.amdhsa_private_segment_fixed_size 0
		.amdhsa_kernarg_size 520
		.amdhsa_user_sgpr_count 2
		.amdhsa_user_sgpr_dispatch_ptr 0
		.amdhsa_user_sgpr_queue_ptr 0
		.amdhsa_user_sgpr_kernarg_segment_ptr 1
		.amdhsa_user_sgpr_dispatch_id 0
		.amdhsa_user_sgpr_kernarg_preload_length 0
		.amdhsa_user_sgpr_kernarg_preload_offset 0
		.amdhsa_user_sgpr_private_segment_size 0
		.amdhsa_wavefront_size32 1
		.amdhsa_uses_dynamic_stack 0
		.amdhsa_enable_private_segment 0
		.amdhsa_system_sgpr_workgroup_id_x 1
		.amdhsa_system_sgpr_workgroup_id_y 1
		.amdhsa_system_sgpr_workgroup_id_z 1
		.amdhsa_system_sgpr_workgroup_info 0
		.amdhsa_system_vgpr_workitem_id 0
		.amdhsa_next_free_vgpr 28
		.amdhsa_next_free_sgpr 30
		.amdhsa_named_barrier_count 0
		.amdhsa_reserve_vcc 1
		.amdhsa_float_round_mode_32 0
		.amdhsa_float_round_mode_16_64 0
		.amdhsa_float_denorm_mode_32 3
		.amdhsa_float_denorm_mode_16_64 3
		.amdhsa_fp16_overflow 0
		.amdhsa_memory_ordered 1
		.amdhsa_forward_progress 1
		.amdhsa_inst_pref_size 42
		.amdhsa_round_robin_scheduling 0
		.amdhsa_exception_fp_ieee_invalid_op 0
		.amdhsa_exception_fp_denorm_src 0
		.amdhsa_exception_fp_ieee_div_zero 0
		.amdhsa_exception_fp_ieee_overflow 0
		.amdhsa_exception_fp_ieee_underflow 0
		.amdhsa_exception_fp_ieee_inexact 0
		.amdhsa_exception_int_div_zero 0
	.end_amdhsa_kernel
	.section	.text._ZN2at6native12_GLOBAL__N_140fractional_max_pool3d_backward_out_frameIfEEvN5torch10headeronly6detail27GenericPackedTensorAccessorINS5_14TensorAccessorIN3c108ArrayRefIlEET_Lm4ENS4_16DefaultPtrTraitsElEENS_6detail16IndexBoundsCheckILm5ElEESB_Lm5ESC_lEENS6_INS7_ISA_KSB_Lm4ESC_lEESG_SI_Lm5ESC_lEENS6_INS7_ISA_KlLm4ESC_lEESG_SL_Lm5ESC_lEE,"axG",@progbits,_ZN2at6native12_GLOBAL__N_140fractional_max_pool3d_backward_out_frameIfEEvN5torch10headeronly6detail27GenericPackedTensorAccessorINS5_14TensorAccessorIN3c108ArrayRefIlEET_Lm4ENS4_16DefaultPtrTraitsElEENS_6detail16IndexBoundsCheckILm5ElEESB_Lm5ESC_lEENS6_INS7_ISA_KSB_Lm4ESC_lEESG_SI_Lm5ESC_lEENS6_INS7_ISA_KlLm4ESC_lEESG_SL_Lm5ESC_lEE,comdat
.Lfunc_end1:
	.size	_ZN2at6native12_GLOBAL__N_140fractional_max_pool3d_backward_out_frameIfEEvN5torch10headeronly6detail27GenericPackedTensorAccessorINS5_14TensorAccessorIN3c108ArrayRefIlEET_Lm4ENS4_16DefaultPtrTraitsElEENS_6detail16IndexBoundsCheckILm5ElEESB_Lm5ESC_lEENS6_INS7_ISA_KSB_Lm4ESC_lEESG_SI_Lm5ESC_lEENS6_INS7_ISA_KlLm4ESC_lEESG_SL_Lm5ESC_lEE, .Lfunc_end1-_ZN2at6native12_GLOBAL__N_140fractional_max_pool3d_backward_out_frameIfEEvN5torch10headeronly6detail27GenericPackedTensorAccessorINS5_14TensorAccessorIN3c108ArrayRefIlEET_Lm4ENS4_16DefaultPtrTraitsElEENS_6detail16IndexBoundsCheckILm5ElEESB_Lm5ESC_lEENS6_INS7_ISA_KSB_Lm4ESC_lEESG_SI_Lm5ESC_lEENS6_INS7_ISA_KlLm4ESC_lEESG_SL_Lm5ESC_lEE
                                        ; -- End function
	.set _ZN2at6native12_GLOBAL__N_140fractional_max_pool3d_backward_out_frameIfEEvN5torch10headeronly6detail27GenericPackedTensorAccessorINS5_14TensorAccessorIN3c108ArrayRefIlEET_Lm4ENS4_16DefaultPtrTraitsElEENS_6detail16IndexBoundsCheckILm5ElEESB_Lm5ESC_lEENS6_INS7_ISA_KSB_Lm4ESC_lEESG_SI_Lm5ESC_lEENS6_INS7_ISA_KlLm4ESC_lEESG_SL_Lm5ESC_lEE.num_vgpr, 28
	.set _ZN2at6native12_GLOBAL__N_140fractional_max_pool3d_backward_out_frameIfEEvN5torch10headeronly6detail27GenericPackedTensorAccessorINS5_14TensorAccessorIN3c108ArrayRefIlEET_Lm4ENS4_16DefaultPtrTraitsElEENS_6detail16IndexBoundsCheckILm5ElEESB_Lm5ESC_lEENS6_INS7_ISA_KSB_Lm4ESC_lEESG_SI_Lm5ESC_lEENS6_INS7_ISA_KlLm4ESC_lEESG_SL_Lm5ESC_lEE.num_agpr, 0
	.set _ZN2at6native12_GLOBAL__N_140fractional_max_pool3d_backward_out_frameIfEEvN5torch10headeronly6detail27GenericPackedTensorAccessorINS5_14TensorAccessorIN3c108ArrayRefIlEET_Lm4ENS4_16DefaultPtrTraitsElEENS_6detail16IndexBoundsCheckILm5ElEESB_Lm5ESC_lEENS6_INS7_ISA_KSB_Lm4ESC_lEESG_SI_Lm5ESC_lEENS6_INS7_ISA_KlLm4ESC_lEESG_SL_Lm5ESC_lEE.numbered_sgpr, 30
	.set _ZN2at6native12_GLOBAL__N_140fractional_max_pool3d_backward_out_frameIfEEvN5torch10headeronly6detail27GenericPackedTensorAccessorINS5_14TensorAccessorIN3c108ArrayRefIlEET_Lm4ENS4_16DefaultPtrTraitsElEENS_6detail16IndexBoundsCheckILm5ElEESB_Lm5ESC_lEENS6_INS7_ISA_KSB_Lm4ESC_lEESG_SI_Lm5ESC_lEENS6_INS7_ISA_KlLm4ESC_lEESG_SL_Lm5ESC_lEE.num_named_barrier, 0
	.set _ZN2at6native12_GLOBAL__N_140fractional_max_pool3d_backward_out_frameIfEEvN5torch10headeronly6detail27GenericPackedTensorAccessorINS5_14TensorAccessorIN3c108ArrayRefIlEET_Lm4ENS4_16DefaultPtrTraitsElEENS_6detail16IndexBoundsCheckILm5ElEESB_Lm5ESC_lEENS6_INS7_ISA_KSB_Lm4ESC_lEESG_SI_Lm5ESC_lEENS6_INS7_ISA_KlLm4ESC_lEESG_SL_Lm5ESC_lEE.private_seg_size, 0
	.set _ZN2at6native12_GLOBAL__N_140fractional_max_pool3d_backward_out_frameIfEEvN5torch10headeronly6detail27GenericPackedTensorAccessorINS5_14TensorAccessorIN3c108ArrayRefIlEET_Lm4ENS4_16DefaultPtrTraitsElEENS_6detail16IndexBoundsCheckILm5ElEESB_Lm5ESC_lEENS6_INS7_ISA_KSB_Lm4ESC_lEESG_SI_Lm5ESC_lEENS6_INS7_ISA_KlLm4ESC_lEESG_SL_Lm5ESC_lEE.uses_vcc, 1
	.set _ZN2at6native12_GLOBAL__N_140fractional_max_pool3d_backward_out_frameIfEEvN5torch10headeronly6detail27GenericPackedTensorAccessorINS5_14TensorAccessorIN3c108ArrayRefIlEET_Lm4ENS4_16DefaultPtrTraitsElEENS_6detail16IndexBoundsCheckILm5ElEESB_Lm5ESC_lEENS6_INS7_ISA_KSB_Lm4ESC_lEESG_SI_Lm5ESC_lEENS6_INS7_ISA_KlLm4ESC_lEESG_SL_Lm5ESC_lEE.uses_flat_scratch, 0
	.set _ZN2at6native12_GLOBAL__N_140fractional_max_pool3d_backward_out_frameIfEEvN5torch10headeronly6detail27GenericPackedTensorAccessorINS5_14TensorAccessorIN3c108ArrayRefIlEET_Lm4ENS4_16DefaultPtrTraitsElEENS_6detail16IndexBoundsCheckILm5ElEESB_Lm5ESC_lEENS6_INS7_ISA_KSB_Lm4ESC_lEESG_SI_Lm5ESC_lEENS6_INS7_ISA_KlLm4ESC_lEESG_SL_Lm5ESC_lEE.has_dyn_sized_stack, 0
	.set _ZN2at6native12_GLOBAL__N_140fractional_max_pool3d_backward_out_frameIfEEvN5torch10headeronly6detail27GenericPackedTensorAccessorINS5_14TensorAccessorIN3c108ArrayRefIlEET_Lm4ENS4_16DefaultPtrTraitsElEENS_6detail16IndexBoundsCheckILm5ElEESB_Lm5ESC_lEENS6_INS7_ISA_KSB_Lm4ESC_lEESG_SI_Lm5ESC_lEENS6_INS7_ISA_KlLm4ESC_lEESG_SL_Lm5ESC_lEE.has_recursion, 0
	.set _ZN2at6native12_GLOBAL__N_140fractional_max_pool3d_backward_out_frameIfEEvN5torch10headeronly6detail27GenericPackedTensorAccessorINS5_14TensorAccessorIN3c108ArrayRefIlEET_Lm4ENS4_16DefaultPtrTraitsElEENS_6detail16IndexBoundsCheckILm5ElEESB_Lm5ESC_lEENS6_INS7_ISA_KSB_Lm4ESC_lEESG_SI_Lm5ESC_lEENS6_INS7_ISA_KlLm4ESC_lEESG_SL_Lm5ESC_lEE.has_indirect_call, 0
	.section	.AMDGPU.csdata,"",@progbits
; Kernel info:
; codeLenInByte = 5292
; TotalNumSgprs: 32
; NumVgprs: 28
; ScratchSize: 0
; MemoryBound: 0
; FloatMode: 240
; IeeeMode: 1
; LDSByteSize: 0 bytes/workgroup (compile time only)
; SGPRBlocks: 0
; VGPRBlocks: 1
; NumSGPRsForWavesPerEU: 32
; NumVGPRsForWavesPerEU: 28
; NamedBarCnt: 0
; Occupancy: 16
; WaveLimiterHint : 1
; COMPUTE_PGM_RSRC2:SCRATCH_EN: 0
; COMPUTE_PGM_RSRC2:USER_SGPR: 2
; COMPUTE_PGM_RSRC2:TRAP_HANDLER: 0
; COMPUTE_PGM_RSRC2:TGID_X_EN: 1
; COMPUTE_PGM_RSRC2:TGID_Y_EN: 1
; COMPUTE_PGM_RSRC2:TGID_Z_EN: 1
; COMPUTE_PGM_RSRC2:TIDIG_COMP_CNT: 0
	.section	.text._ZN2at6native12_GLOBAL__N_140fractional_max_pool3d_backward_out_frameIN3c104HalfEEEvN5torch10headeronly6detail27GenericPackedTensorAccessorINS7_14TensorAccessorINS3_8ArrayRefIlEET_Lm4ENS6_16DefaultPtrTraitsElEENS_6detail16IndexBoundsCheckILm5ElEESC_Lm5ESD_lEENS8_INS9_ISB_KSC_Lm4ESD_lEESH_SJ_Lm5ESD_lEENS8_INS9_ISB_KlLm4ESD_lEESH_SM_Lm5ESD_lEE,"axG",@progbits,_ZN2at6native12_GLOBAL__N_140fractional_max_pool3d_backward_out_frameIN3c104HalfEEEvN5torch10headeronly6detail27GenericPackedTensorAccessorINS7_14TensorAccessorINS3_8ArrayRefIlEET_Lm4ENS6_16DefaultPtrTraitsElEENS_6detail16IndexBoundsCheckILm5ElEESC_Lm5ESD_lEENS8_INS9_ISB_KSC_Lm4ESD_lEESH_SJ_Lm5ESD_lEENS8_INS9_ISB_KlLm4ESD_lEESH_SM_Lm5ESD_lEE,comdat
	.globl	_ZN2at6native12_GLOBAL__N_140fractional_max_pool3d_backward_out_frameIN3c104HalfEEEvN5torch10headeronly6detail27GenericPackedTensorAccessorINS7_14TensorAccessorINS3_8ArrayRefIlEET_Lm4ENS6_16DefaultPtrTraitsElEENS_6detail16IndexBoundsCheckILm5ElEESC_Lm5ESD_lEENS8_INS9_ISB_KSC_Lm4ESD_lEESH_SJ_Lm5ESD_lEENS8_INS9_ISB_KlLm4ESD_lEESH_SM_Lm5ESD_lEE ; -- Begin function _ZN2at6native12_GLOBAL__N_140fractional_max_pool3d_backward_out_frameIN3c104HalfEEEvN5torch10headeronly6detail27GenericPackedTensorAccessorINS7_14TensorAccessorINS3_8ArrayRefIlEET_Lm4ENS6_16DefaultPtrTraitsElEENS_6detail16IndexBoundsCheckILm5ElEESC_Lm5ESD_lEENS8_INS9_ISB_KSC_Lm4ESD_lEESH_SJ_Lm5ESD_lEENS8_INS9_ISB_KlLm4ESD_lEESH_SM_Lm5ESD_lEE
	.p2align	8
	.type	_ZN2at6native12_GLOBAL__N_140fractional_max_pool3d_backward_out_frameIN3c104HalfEEEvN5torch10headeronly6detail27GenericPackedTensorAccessorINS7_14TensorAccessorINS3_8ArrayRefIlEET_Lm4ENS6_16DefaultPtrTraitsElEENS_6detail16IndexBoundsCheckILm5ElEESC_Lm5ESD_lEENS8_INS9_ISB_KSC_Lm4ESD_lEESH_SJ_Lm5ESD_lEENS8_INS9_ISB_KlLm4ESD_lEESH_SM_Lm5ESD_lEE,@function
_ZN2at6native12_GLOBAL__N_140fractional_max_pool3d_backward_out_frameIN3c104HalfEEEvN5torch10headeronly6detail27GenericPackedTensorAccessorINS7_14TensorAccessorINS3_8ArrayRefIlEET_Lm4ENS6_16DefaultPtrTraitsElEENS_6detail16IndexBoundsCheckILm5ElEESC_Lm5ESD_lEENS8_INS9_ISB_KSC_Lm4ESD_lEESH_SJ_Lm5ESD_lEENS8_INS9_ISB_KlLm4ESD_lEESH_SM_Lm5ESD_lEE: ; @_ZN2at6native12_GLOBAL__N_140fractional_max_pool3d_backward_out_frameIN3c104HalfEEEvN5torch10headeronly6detail27GenericPackedTensorAccessorINS7_14TensorAccessorINS3_8ArrayRefIlEET_Lm4ENS6_16DefaultPtrTraitsElEENS_6detail16IndexBoundsCheckILm5ElEESC_Lm5ESD_lEENS8_INS9_ISB_KSC_Lm4ESD_lEESH_SJ_Lm5ESD_lEENS8_INS9_ISB_KlLm4ESD_lEESH_SM_Lm5ESD_lEE
; %bb.0:
	s_clause 0x2
	s_load_b32 s2, s[0:1], 0x114
	s_load_b128 s[4:7], s[0:1], 0x70
	s_load_b64 s[8:9], s[0:1], 0x80
	s_bfe_u32 s3, ttmp6, 0x4000c
	v_mov_b32_e32 v2, 0
	s_add_co_i32 s11, s3, 1
	s_and_b32 s10, ttmp6, 15
	s_mul_i32 s11, ttmp9, s11
	s_getreg_b32 s3, hwreg(HW_REG_IB_STS2, 6, 4)
	v_mov_b32_e32 v1, v2
	s_add_co_i32 s10, s10, s11
	s_wait_kmcnt 0x0
	s_and_b32 s2, s2, 0xffff
	s_cmp_eq_u32 s3, 0
	s_cselect_b32 s10, ttmp9, s10
	s_delay_alu instid0(SALU_CYCLE_1)
	v_mad_nc_u64_u32 v[4:5], s2, s10, v[0:1]
	s_mul_u64 s[10:11], s[8:9], s[6:7]
	s_mov_b32 s2, exec_lo
	s_mul_u64 s[4:5], s[10:11], s[4:5]
	s_delay_alu instid0(VALU_DEP_1) | instid1(SALU_CYCLE_1)
	v_cmpx_gt_i64_e64 s[4:5], v[4:5]
	s_cbranch_execz .LBB2_39
; %bb.1:
	v_or_b32_e32 v3, s9, v5
                                        ; implicit-def: $vgpr6_vgpr7
	s_mov_b32 s2, exec_lo
	s_delay_alu instid0(VALU_DEP_1)
	v_cmpx_ne_u64_e32 0, v[2:3]
	s_xor_b32 s14, exec_lo, s2
	s_cbranch_execz .LBB2_3
; %bb.2:
	s_ashr_i32 s4, s9, 31
	s_mov_b32 s23, 0
	s_mov_b32 s5, s4
	v_dual_mov_b32 v7, 0 :: v_dual_ashrrev_i32 v0, 31, v5
	s_add_nc_u64 s[12:13], s[8:9], s[4:5]
	s_delay_alu instid0(SALU_CYCLE_1) | instskip(NEXT) | instid1(VALU_DEP_1)
	s_xor_b64 s[12:13], s[12:13], s[4:5]
	v_mov_b32_e32 v1, v0
	s_cvt_f32_u32 s2, s12
	s_cvt_f32_u32 s5, s13
	s_sub_nc_u64 s[18:19], 0, s[12:13]
	v_dual_mov_b32 v9, v7 :: v_dual_mov_b32 v15, v7
	s_delay_alu instid0(SALU_CYCLE_1) | instskip(SKIP_1) | instid1(SALU_CYCLE_2)
	s_fmamk_f32 s2, s5, 0x4f800000, s2
	v_add_nc_u64_e32 v[2:3], v[4:5], v[0:1]
	v_s_rcp_f32 s2, s2
	s_delay_alu instid0(VALU_DEP_1) | instskip(NEXT) | instid1(VALU_DEP_2)
	v_xor_b32_e32 v6, v2, v0
	v_xor_b32_e32 v8, v3, v0
	v_xor_b32_e32 v0, s4, v0
	s_delay_alu instid0(TRANS32_DEP_1) | instskip(NEXT) | instid1(SALU_CYCLE_3)
	s_mul_f32 s2, s2, 0x5f7ffffc
	s_mul_f32 s5, s2, 0x2f800000
	s_delay_alu instid0(SALU_CYCLE_3) | instskip(NEXT) | instid1(SALU_CYCLE_3)
	s_trunc_f32 s5, s5
	s_fmamk_f32 s2, s5, 0xcf800000, s2
	s_cvt_u32_f32 s17, s5
	s_delay_alu instid0(SALU_CYCLE_2) | instskip(NEXT) | instid1(SALU_CYCLE_3)
	s_cvt_u32_f32 s16, s2
	s_mul_u64 s[20:21], s[18:19], s[16:17]
	s_delay_alu instid0(SALU_CYCLE_1)
	s_mul_hi_u32 s25, s16, s21
	s_mul_i32 s24, s16, s21
	s_mul_hi_u32 s22, s16, s20
	s_mul_i32 s5, s17, s20
	s_add_nc_u64 s[24:25], s[22:23], s[24:25]
	s_mul_hi_u32 s2, s17, s20
	s_mul_hi_u32 s15, s17, s21
	s_add_co_u32 s5, s24, s5
	s_add_co_ci_u32 s22, s25, s2
	s_mul_i32 s20, s17, s21
	s_add_co_ci_u32 s21, s15, 0
	s_delay_alu instid0(SALU_CYCLE_1) | instskip(NEXT) | instid1(SALU_CYCLE_1)
	s_add_nc_u64 s[20:21], s[22:23], s[20:21]
	s_add_co_u32 s16, s16, s20
	s_cselect_b32 s2, -1, 0
	s_delay_alu instid0(SALU_CYCLE_1) | instskip(SKIP_1) | instid1(SALU_CYCLE_1)
	s_cmp_lg_u32 s2, 0
	s_add_co_ci_u32 s17, s17, s21
	s_mul_u64 s[18:19], s[18:19], s[16:17]
	s_delay_alu instid0(SALU_CYCLE_1)
	s_mul_hi_u32 s21, s16, s19
	s_mul_i32 s20, s16, s19
	s_mul_hi_u32 s22, s16, s18
	s_mul_i32 s5, s17, s18
	s_add_nc_u64 s[20:21], s[22:23], s[20:21]
	s_mul_hi_u32 s2, s17, s18
	s_mul_hi_u32 s15, s17, s19
	s_add_co_u32 s5, s20, s5
	s_add_co_ci_u32 s22, s21, s2
	s_mul_i32 s18, s17, s19
	s_add_co_ci_u32 s19, s15, 0
	s_delay_alu instid0(SALU_CYCLE_1) | instskip(NEXT) | instid1(SALU_CYCLE_1)
	s_add_nc_u64 s[18:19], s[22:23], s[18:19]
	s_add_co_u32 s2, s16, s18
	s_cselect_b32 s5, -1, 0
	v_mul_hi_u32 v14, v6, s2
	s_cmp_lg_u32 s5, 0
	s_add_co_ci_u32 s22, s17, s19
	s_mov_b64 s[16:17], 0xffffffff
	v_mul_u64_e32 v[10:11], s[22:23], v[6:7]
	s_and_b64 s[16:17], s[2:3], s[16:17]
	v_mul_u64_e32 v[12:13], s[22:23], v[8:9]
	v_mul_u64_e32 v[2:3], s[16:17], v[8:9]
	s_delay_alu instid0(VALU_DEP_3) | instskip(NEXT) | instid1(VALU_DEP_1)
	v_add_nc_u64_e32 v[10:11], v[14:15], v[10:11]
	v_add_co_u32 v1, vcc_lo, v10, v2
	s_delay_alu instid0(VALU_DEP_2) | instskip(SKIP_1) | instid1(VALU_DEP_1)
	v_add_co_ci_u32_e32 v14, vcc_lo, v11, v3, vcc_lo
	v_add_co_ci_u32_e32 v13, vcc_lo, 0, v13, vcc_lo
	v_add_nc_u64_e32 v[2:3], v[14:15], v[12:13]
	s_delay_alu instid0(VALU_DEP_1) | instskip(NEXT) | instid1(VALU_DEP_1)
	v_mul_u64_e32 v[10:11], s[12:13], v[2:3]
	v_sub_nc_u32_e32 v1, v8, v11
	s_delay_alu instid0(VALU_DEP_2) | instskip(NEXT) | instid1(VALU_DEP_1)
	v_sub_co_u32 v6, vcc_lo, v6, v10
	v_sub_co_ci_u32_e64 v10, null, v8, v11, vcc_lo
	s_delay_alu instid0(VALU_DEP_3) | instskip(NEXT) | instid1(VALU_DEP_3)
	v_subrev_co_ci_u32_e64 v1, null, s13, v1, vcc_lo
	v_sub_co_u32 v7, s2, v6, s12
	s_delay_alu instid0(VALU_DEP_1) | instskip(NEXT) | instid1(VALU_DEP_2)
	v_subrev_co_ci_u32_e64 v1, null, 0, v1, s2
	v_cmp_le_u32_e32 vcc_lo, s12, v7
	v_cndmask_b32_e64 v7, 0, -1, vcc_lo
	s_delay_alu instid0(VALU_DEP_3)
	v_cmp_le_u32_e32 vcc_lo, s13, v1
	v_cndmask_b32_e64 v8, 0, -1, vcc_lo
	v_cmp_le_u32_e32 vcc_lo, s12, v6
	v_cndmask_b32_e64 v11, 0, -1, vcc_lo
	;; [unrolled: 2-line block ×3, first 2 shown]
	v_cmp_eq_u32_e32 vcc_lo, s13, v1
	v_cndmask_b32_e32 v1, v8, v7, vcc_lo
	v_cmp_eq_u32_e32 vcc_lo, s13, v10
	v_add_nc_u64_e32 v[6:7], 2, v[2:3]
	v_add_nc_u64_e32 v[8:9], 1, v[2:3]
	v_cndmask_b32_e32 v10, v12, v11, vcc_lo
	v_cmp_ne_u32_e32 vcc_lo, 0, v1
	s_delay_alu instid0(VALU_DEP_2) | instskip(NEXT) | instid1(VALU_DEP_4)
	v_cmp_ne_u32_e64 s2, 0, v10
	v_dual_cndmask_b32 v6, v8, v6 :: v_dual_cndmask_b32 v1, v9, v7
	s_delay_alu instid0(VALU_DEP_1) | instskip(NEXT) | instid1(VALU_DEP_1)
	v_dual_cndmask_b32 v2, v2, v6, s2 :: v_dual_cndmask_b32 v3, v3, v1, s2
	v_dual_mov_b32 v1, v0 :: v_dual_bitop2_b32 v2, v2, v0 bitop3:0x14
	s_delay_alu instid0(VALU_DEP_2) | instskip(NEXT) | instid1(VALU_DEP_1)
	v_xor_b32_e32 v3, v3, v0
	v_sub_nc_u64_e32 v[6:7], v[2:3], v[0:1]
.LBB2_3:
	s_and_not1_saveexec_b32 s2, s14
	s_cbranch_execz .LBB2_5
; %bb.4:
	v_cvt_f32_u32_e32 v0, s8
	s_sub_co_i32 s4, 0, s8
	v_mov_b32_e32 v7, 0
	s_delay_alu instid0(VALU_DEP_2) | instskip(SKIP_1) | instid1(TRANS32_DEP_1)
	v_rcp_iflag_f32_e32 v0, v0
	v_nop
	v_mul_f32_e32 v0, 0x4f7ffffe, v0
	s_delay_alu instid0(VALU_DEP_1) | instskip(NEXT) | instid1(VALU_DEP_1)
	v_cvt_u32_f32_e32 v0, v0
	v_mul_lo_u32 v1, s4, v0
	s_delay_alu instid0(VALU_DEP_1) | instskip(NEXT) | instid1(VALU_DEP_1)
	v_mul_hi_u32 v1, v0, v1
	v_add_nc_u32_e32 v0, v0, v1
	s_delay_alu instid0(VALU_DEP_1) | instskip(NEXT) | instid1(VALU_DEP_1)
	v_mul_hi_u32 v0, v4, v0
	v_mul_lo_u32 v1, v0, s8
	s_delay_alu instid0(VALU_DEP_1) | instskip(NEXT) | instid1(VALU_DEP_1)
	v_dual_add_nc_u32 v2, 1, v0 :: v_dual_sub_nc_u32 v1, v4, v1
	v_subrev_nc_u32_e32 v3, s8, v1
	v_cmp_le_u32_e32 vcc_lo, s8, v1
	s_delay_alu instid0(VALU_DEP_2) | instskip(NEXT) | instid1(VALU_DEP_1)
	v_dual_cndmask_b32 v1, v1, v3 :: v_dual_cndmask_b32 v0, v0, v2
	v_cmp_le_u32_e32 vcc_lo, s8, v1
	s_delay_alu instid0(VALU_DEP_2) | instskip(NEXT) | instid1(VALU_DEP_1)
	v_add_nc_u32_e32 v2, 1, v0
	v_cndmask_b32_e32 v6, v0, v2, vcc_lo
.LBB2_5:
	s_or_b32 exec_lo, exec_lo, s2
	s_delay_alu instid0(VALU_DEP_1) | instskip(SKIP_1) | instid1(VALU_DEP_1)
	v_dual_mov_b32 v2, 0 :: v_dual_bitop2_b32 v3, s7, v7 bitop3:0x54
                                        ; implicit-def: $vgpr0_vgpr1
	s_mov_b32 s2, exec_lo
	v_cmpx_ne_u64_e32 0, v[2:3]
	s_xor_b32 s12, exec_lo, s2
	s_cbranch_execz .LBB2_7
; %bb.6:
	s_ashr_i32 s4, s7, 31
	s_mov_b32 s21, 0
	s_mov_b32 s5, s4
	v_dual_mov_b32 v11, v2 :: v_dual_ashrrev_i32 v0, 31, v7
	s_add_nc_u64 s[14:15], s[6:7], s[4:5]
	v_mov_b32_e32 v13, v2
	s_xor_b64 s[4:5], s[14:15], s[4:5]
	s_delay_alu instid0(VALU_DEP_2)
	v_mov_b32_e32 v1, v0
	s_cvt_f32_u32 s2, s4
	s_cvt_f32_u32 s7, s5
	s_sub_nc_u64 s[16:17], 0, s[4:5]
	v_mov_b32_e32 v19, v2
	v_add_nc_u64_e32 v[8:9], v[6:7], v[0:1]
	s_fmamk_f32 s2, s7, 0x4f800000, s2
	v_mov_b32_e32 v3, v2
	s_delay_alu instid0(SALU_CYCLE_2) | instskip(NEXT) | instid1(VALU_DEP_2)
	v_s_rcp_f32 s2, s2
	v_xor_b32_e32 v10, v8, v0
	s_delay_alu instid0(VALU_DEP_3) | instskip(NEXT) | instid1(TRANS32_DEP_1)
	v_xor_b32_e32 v12, v9, v0
	s_mul_f32 s2, s2, 0x5f7ffffc
	s_delay_alu instid0(SALU_CYCLE_3) | instskip(NEXT) | instid1(SALU_CYCLE_3)
	s_mul_f32 s7, s2, 0x2f800000
	s_trunc_f32 s7, s7
	s_delay_alu instid0(SALU_CYCLE_3) | instskip(SKIP_1) | instid1(SALU_CYCLE_2)
	s_fmamk_f32 s2, s7, 0xcf800000, s2
	s_cvt_u32_f32 s15, s7
	s_cvt_u32_f32 s14, s2
	s_delay_alu instid0(SALU_CYCLE_3) | instskip(NEXT) | instid1(SALU_CYCLE_1)
	s_mul_u64 s[18:19], s[16:17], s[14:15]
	s_mul_hi_u32 s23, s14, s19
	s_mul_i32 s22, s14, s19
	s_mul_hi_u32 s20, s14, s18
	s_mul_i32 s7, s15, s18
	s_add_nc_u64 s[22:23], s[20:21], s[22:23]
	s_mul_hi_u32 s2, s15, s18
	s_mul_hi_u32 s13, s15, s19
	s_add_co_u32 s7, s22, s7
	s_add_co_ci_u32 s20, s23, s2
	s_mul_i32 s18, s15, s19
	s_add_co_ci_u32 s19, s13, 0
	s_delay_alu instid0(SALU_CYCLE_1) | instskip(NEXT) | instid1(SALU_CYCLE_1)
	s_add_nc_u64 s[18:19], s[20:21], s[18:19]
	s_add_co_u32 s14, s14, s18
	s_cselect_b32 s2, -1, 0
	s_delay_alu instid0(SALU_CYCLE_1) | instskip(SKIP_1) | instid1(SALU_CYCLE_1)
	s_cmp_lg_u32 s2, 0
	s_add_co_ci_u32 s15, s15, s19
	s_mul_u64 s[16:17], s[16:17], s[14:15]
	s_delay_alu instid0(SALU_CYCLE_1)
	s_mul_hi_u32 s19, s14, s17
	s_mul_i32 s18, s14, s17
	s_mul_hi_u32 s20, s14, s16
	s_mul_i32 s7, s15, s16
	s_add_nc_u64 s[18:19], s[20:21], s[18:19]
	s_mul_hi_u32 s2, s15, s16
	s_mul_hi_u32 s13, s15, s17
	s_add_co_u32 s7, s18, s7
	s_add_co_ci_u32 s20, s19, s2
	s_mul_i32 s16, s15, s17
	s_add_co_ci_u32 s17, s13, 0
	s_delay_alu instid0(SALU_CYCLE_1) | instskip(NEXT) | instid1(SALU_CYCLE_1)
	s_add_nc_u64 s[16:17], s[20:21], s[16:17]
	s_add_co_u32 s2, s14, s16
	s_cselect_b32 s7, -1, 0
	v_mul_hi_u32 v18, v10, s2
	s_cmp_lg_u32 s7, 0
	s_add_co_ci_u32 s20, s15, s17
	s_mov_b64 s[14:15], 0xffffffff
	v_mul_u64_e32 v[14:15], s[20:21], v[10:11]
	s_and_b64 s[14:15], s[2:3], s[14:15]
	v_mul_u64_e32 v[16:17], s[20:21], v[12:13]
	v_mul_u64_e32 v[8:9], s[14:15], v[12:13]
	s_delay_alu instid0(VALU_DEP_3) | instskip(NEXT) | instid1(VALU_DEP_1)
	v_add_nc_u64_e32 v[14:15], v[18:19], v[14:15]
	v_add_co_u32 v2, vcc_lo, v14, v8
	s_delay_alu instid0(VALU_DEP_2) | instskip(SKIP_1) | instid1(VALU_DEP_1)
	v_add_co_ci_u32_e32 v2, vcc_lo, v15, v9, vcc_lo
	v_add_co_ci_u32_e32 v17, vcc_lo, 0, v17, vcc_lo
	v_add_nc_u64_e32 v[2:3], v[2:3], v[16:17]
	s_delay_alu instid0(VALU_DEP_1) | instskip(NEXT) | instid1(VALU_DEP_1)
	v_mul_u64_e32 v[2:3], s[4:5], v[2:3]
	v_sub_nc_u32_e32 v8, v12, v3
	s_delay_alu instid0(VALU_DEP_2) | instskip(NEXT) | instid1(VALU_DEP_1)
	v_sub_co_u32 v2, vcc_lo, v10, v2
	v_sub_co_ci_u32_e64 v3, null, v12, v3, vcc_lo
	s_delay_alu instid0(VALU_DEP_3) | instskip(NEXT) | instid1(VALU_DEP_3)
	v_subrev_co_ci_u32_e64 v8, null, s5, v8, vcc_lo
	v_sub_co_u32 v9, vcc_lo, v2, s4
	v_cmp_le_u32_e64 s2, s4, v2
	s_delay_alu instid0(VALU_DEP_3) | instskip(SKIP_1) | instid1(VALU_DEP_3)
	v_subrev_co_ci_u32_e64 v10, null, 0, v8, vcc_lo
	v_subrev_co_ci_u32_e64 v8, null, s5, v8, vcc_lo
	v_cndmask_b32_e64 v11, 0, -1, s2
	v_cmp_le_u32_e64 s2, s4, v9
	v_cmp_le_u32_e32 vcc_lo, s5, v3
	s_delay_alu instid0(VALU_DEP_2) | instskip(SKIP_3) | instid1(VALU_DEP_3)
	v_cndmask_b32_e64 v12, 0, -1, s2
	v_cmp_le_u32_e64 s2, s5, v10
	v_cndmask_b32_e64 v14, 0, -1, vcc_lo
	v_cmp_eq_u32_e32 vcc_lo, s5, v10
	v_cndmask_b32_e64 v13, 0, -1, s2
	v_cmp_eq_u32_e64 s2, s5, v3
	s_delay_alu instid0(VALU_DEP_2) | instskip(SKIP_1) | instid1(VALU_DEP_1)
	v_cndmask_b32_e32 v12, v13, v12, vcc_lo
	v_sub_co_u32 v13, vcc_lo, v9, s4
	v_subrev_co_ci_u32_e64 v8, null, 0, v8, vcc_lo
	s_delay_alu instid0(VALU_DEP_3) | instskip(NEXT) | instid1(VALU_DEP_3)
	v_cmp_ne_u32_e32 vcc_lo, 0, v12
	v_dual_cndmask_b32 v11, v14, v11, s2 :: v_dual_cndmask_b32 v9, v9, v13, vcc_lo
	s_delay_alu instid0(VALU_DEP_3) | instskip(NEXT) | instid1(VALU_DEP_2)
	v_cndmask_b32_e32 v8, v10, v8, vcc_lo
	v_cmp_ne_u32_e32 vcc_lo, 0, v11
	s_delay_alu instid0(VALU_DEP_2) | instskip(NEXT) | instid1(VALU_DEP_1)
	v_dual_cndmask_b32 v3, v3, v8 :: v_dual_cndmask_b32 v2, v2, v9
	v_xor_b32_e32 v3, v3, v0
	s_delay_alu instid0(VALU_DEP_2) | instskip(NEXT) | instid1(VALU_DEP_1)
	v_xor_b32_e32 v2, v2, v0
	v_sub_nc_u64_e32 v[0:1], v[2:3], v[0:1]
.LBB2_7:
	s_and_not1_saveexec_b32 s2, s12
	s_cbranch_execz .LBB2_9
; %bb.8:
	v_cvt_f32_u32_e32 v0, s6
	s_sub_co_i32 s4, 0, s6
	s_delay_alu instid0(VALU_DEP_1) | instskip(SKIP_1) | instid1(TRANS32_DEP_1)
	v_rcp_iflag_f32_e32 v0, v0
	v_nop
	v_mul_f32_e32 v0, 0x4f7ffffe, v0
	s_delay_alu instid0(VALU_DEP_1) | instskip(NEXT) | instid1(VALU_DEP_1)
	v_cvt_u32_f32_e32 v0, v0
	v_mul_lo_u32 v1, s4, v0
	s_delay_alu instid0(VALU_DEP_1) | instskip(NEXT) | instid1(VALU_DEP_1)
	v_mul_hi_u32 v1, v0, v1
	v_add_nc_u32_e32 v0, v0, v1
	s_delay_alu instid0(VALU_DEP_1) | instskip(NEXT) | instid1(VALU_DEP_1)
	v_mul_hi_u32 v0, v6, v0
	v_mul_lo_u32 v0, v0, s6
	s_delay_alu instid0(VALU_DEP_1) | instskip(NEXT) | instid1(VALU_DEP_1)
	v_sub_nc_u32_e32 v0, v6, v0
	v_subrev_nc_u32_e32 v1, s6, v0
	v_cmp_le_u32_e32 vcc_lo, s6, v0
	s_delay_alu instid0(VALU_DEP_2) | instskip(NEXT) | instid1(VALU_DEP_1)
	v_cndmask_b32_e32 v0, v0, v1, vcc_lo
	v_subrev_nc_u32_e32 v1, s6, v0
	v_cmp_le_u32_e32 vcc_lo, s6, v0
	s_delay_alu instid0(VALU_DEP_2)
	v_dual_cndmask_b32 v0, v0, v1 :: v_dual_mov_b32 v1, 0
.LBB2_9:
	s_or_b32 exec_lo, exec_lo, s2
	v_dual_mov_b32 v8, 0 :: v_dual_bitop2_b32 v9, s11, v5 bitop3:0x54
                                        ; implicit-def: $vgpr2_vgpr3
	s_mov_b32 s2, exec_lo
	s_delay_alu instid0(VALU_DEP_1)
	v_cmpx_ne_u64_e32 0, v[8:9]
	s_xor_b32 s12, exec_lo, s2
	s_cbranch_execz .LBB2_11
; %bb.10:
	s_ashr_i32 s4, s11, 31
	s_mov_b32 s21, 0
	s_mov_b32 s5, s4
	v_dual_mov_b32 v13, v8 :: v_dual_ashrrev_i32 v2, 31, v5
	s_add_nc_u64 s[6:7], s[10:11], s[4:5]
	v_mov_b32_e32 v15, v8
	s_xor_b64 s[6:7], s[6:7], s[4:5]
	s_delay_alu instid0(VALU_DEP_2)
	v_mov_b32_e32 v3, v2
	s_cvt_f32_u32 s2, s6
	s_cvt_f32_u32 s5, s7
	s_sub_nc_u64 s[16:17], 0, s[6:7]
	v_mov_b32_e32 v21, v8
	v_add_nc_u64_e32 v[10:11], v[4:5], v[2:3]
	s_fmamk_f32 s2, s5, 0x4f800000, s2
	v_mov_b32_e32 v9, v8
	s_delay_alu instid0(SALU_CYCLE_2) | instskip(NEXT) | instid1(VALU_DEP_2)
	v_s_rcp_f32 s2, s2
	v_xor_b32_e32 v12, v10, v2
	s_delay_alu instid0(VALU_DEP_3) | instskip(SKIP_1) | instid1(TRANS32_DEP_1)
	v_xor_b32_e32 v14, v11, v2
	v_xor_b32_e32 v2, s4, v2
	s_mul_f32 s2, s2, 0x5f7ffffc
	s_delay_alu instid0(SALU_CYCLE_3) | instskip(NEXT) | instid1(SALU_CYCLE_3)
	s_mul_f32 s5, s2, 0x2f800000
	s_trunc_f32 s5, s5
	s_delay_alu instid0(SALU_CYCLE_3) | instskip(SKIP_1) | instid1(SALU_CYCLE_2)
	s_fmamk_f32 s2, s5, 0xcf800000, s2
	s_cvt_u32_f32 s15, s5
	s_cvt_u32_f32 s14, s2
	s_delay_alu instid0(SALU_CYCLE_3) | instskip(NEXT) | instid1(SALU_CYCLE_1)
	s_mul_u64 s[18:19], s[16:17], s[14:15]
	s_mul_hi_u32 s23, s14, s19
	s_mul_i32 s22, s14, s19
	s_mul_hi_u32 s20, s14, s18
	s_mul_i32 s5, s15, s18
	s_add_nc_u64 s[22:23], s[20:21], s[22:23]
	s_mul_hi_u32 s2, s15, s18
	s_mul_hi_u32 s11, s15, s19
	s_add_co_u32 s5, s22, s5
	s_add_co_ci_u32 s20, s23, s2
	s_mul_i32 s18, s15, s19
	s_add_co_ci_u32 s19, s11, 0
	s_delay_alu instid0(SALU_CYCLE_1) | instskip(NEXT) | instid1(SALU_CYCLE_1)
	s_add_nc_u64 s[18:19], s[20:21], s[18:19]
	s_add_co_u32 s14, s14, s18
	s_cselect_b32 s2, -1, 0
	s_delay_alu instid0(SALU_CYCLE_1) | instskip(SKIP_1) | instid1(SALU_CYCLE_1)
	s_cmp_lg_u32 s2, 0
	s_add_co_ci_u32 s15, s15, s19
	s_mul_u64 s[16:17], s[16:17], s[14:15]
	s_delay_alu instid0(SALU_CYCLE_1)
	s_mul_hi_u32 s19, s14, s17
	s_mul_i32 s18, s14, s17
	s_mul_hi_u32 s20, s14, s16
	s_mul_i32 s5, s15, s16
	s_add_nc_u64 s[18:19], s[20:21], s[18:19]
	s_mul_hi_u32 s2, s15, s16
	s_mul_hi_u32 s11, s15, s17
	s_add_co_u32 s5, s18, s5
	s_add_co_ci_u32 s20, s19, s2
	s_mul_i32 s16, s15, s17
	s_add_co_ci_u32 s17, s11, 0
	s_delay_alu instid0(SALU_CYCLE_1) | instskip(NEXT) | instid1(SALU_CYCLE_1)
	s_add_nc_u64 s[16:17], s[20:21], s[16:17]
	s_add_co_u32 s2, s14, s16
	s_cselect_b32 s5, -1, 0
	v_mul_hi_u32 v20, v12, s2
	s_cmp_lg_u32 s5, 0
	s_add_co_ci_u32 s20, s15, s17
	s_mov_b64 s[14:15], 0xffffffff
	v_mul_u64_e32 v[16:17], s[20:21], v[12:13]
	s_and_b64 s[14:15], s[2:3], s[14:15]
	v_mul_u64_e32 v[18:19], s[20:21], v[14:15]
	v_mul_u64_e32 v[10:11], s[14:15], v[14:15]
	s_delay_alu instid0(VALU_DEP_3) | instskip(NEXT) | instid1(VALU_DEP_1)
	v_add_nc_u64_e32 v[16:17], v[20:21], v[16:17]
	v_add_co_u32 v3, vcc_lo, v16, v10
	s_delay_alu instid0(VALU_DEP_2) | instskip(SKIP_1) | instid1(VALU_DEP_1)
	v_add_co_ci_u32_e32 v8, vcc_lo, v17, v11, vcc_lo
	v_add_co_ci_u32_e32 v19, vcc_lo, 0, v19, vcc_lo
	v_add_nc_u64_e32 v[8:9], v[8:9], v[18:19]
	s_delay_alu instid0(VALU_DEP_1) | instskip(NEXT) | instid1(VALU_DEP_1)
	v_mul_u64_e32 v[10:11], s[6:7], v[8:9]
	v_sub_nc_u32_e32 v3, v14, v11
	s_delay_alu instid0(VALU_DEP_2) | instskip(NEXT) | instid1(VALU_DEP_1)
	v_sub_co_u32 v10, vcc_lo, v12, v10
	v_sub_co_ci_u32_e64 v14, null, v14, v11, vcc_lo
	s_delay_alu instid0(VALU_DEP_3) | instskip(NEXT) | instid1(VALU_DEP_3)
	v_subrev_co_ci_u32_e64 v3, null, s7, v3, vcc_lo
	v_sub_co_u32 v12, s2, v10, s6
	s_delay_alu instid0(VALU_DEP_1) | instskip(NEXT) | instid1(VALU_DEP_2)
	v_subrev_co_ci_u32_e64 v3, null, 0, v3, s2
	v_cmp_le_u32_e32 vcc_lo, s6, v12
	v_cndmask_b32_e64 v11, 0, -1, vcc_lo
	s_delay_alu instid0(VALU_DEP_3)
	v_cmp_le_u32_e32 vcc_lo, s7, v3
	v_cndmask_b32_e64 v12, 0, -1, vcc_lo
	v_cmp_le_u32_e32 vcc_lo, s6, v10
	v_cndmask_b32_e64 v15, 0, -1, vcc_lo
	;; [unrolled: 2-line block ×3, first 2 shown]
	v_cmp_eq_u32_e32 vcc_lo, s7, v3
	v_cndmask_b32_e32 v3, v12, v11, vcc_lo
	v_cmp_eq_u32_e32 vcc_lo, s7, v14
	v_add_nc_u64_e32 v[10:11], 2, v[8:9]
	v_add_nc_u64_e32 v[12:13], 1, v[8:9]
	v_cndmask_b32_e32 v14, v16, v15, vcc_lo
	v_cmp_ne_u32_e32 vcc_lo, 0, v3
	s_delay_alu instid0(VALU_DEP_2) | instskip(NEXT) | instid1(VALU_DEP_4)
	v_cmp_ne_u32_e64 s2, 0, v14
	v_dual_cndmask_b32 v10, v12, v10 :: v_dual_cndmask_b32 v3, v13, v11
	s_delay_alu instid0(VALU_DEP_1) | instskip(NEXT) | instid1(VALU_DEP_1)
	v_dual_cndmask_b32 v8, v8, v10, s2 :: v_dual_cndmask_b32 v9, v9, v3, s2
	v_dual_mov_b32 v3, v2 :: v_dual_bitop2_b32 v8, v8, v2 bitop3:0x14
	s_delay_alu instid0(VALU_DEP_2) | instskip(NEXT) | instid1(VALU_DEP_1)
	v_xor_b32_e32 v9, v9, v2
	v_sub_nc_u64_e32 v[2:3], v[8:9], v[2:3]
.LBB2_11:
	s_and_not1_saveexec_b32 s2, s12
	s_cbranch_execz .LBB2_13
; %bb.12:
	v_cvt_f32_u32_e32 v2, s10
	s_sub_co_i32 s4, 0, s10
	s_delay_alu instid0(VALU_DEP_1) | instskip(SKIP_1) | instid1(TRANS32_DEP_1)
	v_rcp_iflag_f32_e32 v2, v2
	v_nop
	v_mul_f32_e32 v2, 0x4f7ffffe, v2
	s_delay_alu instid0(VALU_DEP_1) | instskip(NEXT) | instid1(VALU_DEP_1)
	v_cvt_u32_f32_e32 v2, v2
	v_mul_lo_u32 v3, s4, v2
	s_delay_alu instid0(VALU_DEP_1) | instskip(NEXT) | instid1(VALU_DEP_1)
	v_mul_hi_u32 v3, v2, v3
	v_add_nc_u32_e32 v2, v2, v3
	s_delay_alu instid0(VALU_DEP_1) | instskip(NEXT) | instid1(VALU_DEP_1)
	v_mul_hi_u32 v2, v4, v2
	v_mul_lo_u32 v3, v2, s10
	s_delay_alu instid0(VALU_DEP_1) | instskip(NEXT) | instid1(VALU_DEP_1)
	v_dual_add_nc_u32 v8, 1, v2 :: v_dual_sub_nc_u32 v3, v4, v3
	v_subrev_nc_u32_e32 v9, s10, v3
	v_cmp_le_u32_e32 vcc_lo, s10, v3
	s_delay_alu instid0(VALU_DEP_2) | instskip(NEXT) | instid1(VALU_DEP_1)
	v_dual_cndmask_b32 v3, v3, v9 :: v_dual_cndmask_b32 v2, v2, v8
	v_cmp_le_u32_e32 vcc_lo, s10, v3
	s_delay_alu instid0(VALU_DEP_2) | instskip(NEXT) | instid1(VALU_DEP_1)
	v_dual_mov_b32 v3, 0 :: v_dual_add_nc_u32 v8, 1, v2
	v_cndmask_b32_e32 v2, v2, v8, vcc_lo
.LBB2_13:
	s_or_b32 exec_lo, exec_lo, s2
	v_mul_u64_e32 v[6:7], s[8:9], v[6:7]
	s_clause 0x1
	s_load_b256 s[4:11], s[0:1], 0xe0
	s_load_b64 s[12:13], s[0:1], 0x100
	s_lshr_b32 s2, ttmp7, 16
	s_bfe_u32 s14, ttmp6, 0x40004
	s_mov_b32 s17, 0
	s_delay_alu instid0(SALU_CYCLE_1) | instskip(SKIP_3) | instid1(VALU_DEP_2)
	s_mov_b32 s19, s17
	s_wait_kmcnt 0x0
	v_mul_u64_e32 v[8:9], s[8:9], v[2:3]
	s_bfe_u32 s8, ttmp6, 0x40014
	v_sub_nc_u64_e32 v[4:5], v[4:5], v[6:7]
	v_mul_u64_e32 v[6:7], s[10:11], v[0:1]
	s_add_co_i32 s10, s8, 1
	s_load_b64 s[8:9], s[0:1], 0xb0
	s_bfe_u32 s11, ttmp6, 0x40010
	s_mul_i32 s10, s2, s10
	s_add_co_i32 s11, s11, 1
	v_mul_u64_e32 v[10:11], s[12:13], v[4:5]
	s_and_b32 s12, ttmp7, 0xffff
	s_bfe_u32 s13, ttmp6, 0x40008
	s_mul_i32 s11, s12, s11
	s_add_co_i32 s13, s13, s10
	s_add_co_i32 s14, s14, s11
	s_cmp_eq_u32 s3, 0
	s_cselect_b32 s18, s2, s13
	s_cselect_b32 s16, s12, s14
	s_mul_u64 s[2:3], s[4:5], s[18:19]
	s_mul_u64 s[4:5], s[6:7], s[16:17]
	s_lshl_b64 s[2:3], s[2:3], 3
	s_lshl_b64 s[4:5], s[4:5], 3
	s_wait_kmcnt 0x0
	s_add_nc_u64 s[2:3], s[8:9], s[2:3]
	s_delay_alu instid0(SALU_CYCLE_1)
	s_add_nc_u64 s[2:3], s[2:3], s[4:5]
	s_delay_alu instid0(VALU_DEP_4) | instid1(SALU_CYCLE_1)
	v_lshl_add_u64 v[8:9], v[8:9], 3, s[2:3]
	s_mov_b32 s2, exec_lo
	s_delay_alu instid0(VALU_DEP_1) | instskip(NEXT) | instid1(VALU_DEP_1)
	v_lshl_add_u64 v[6:7], v[6:7], 3, v[8:9]
	v_lshl_add_u64 v[6:7], v[10:11], 3, v[6:7]
	global_load_b64 v[6:7], v[6:7], off
	s_wait_loadcnt 0x0
	v_cmpx_lt_i64_e32 -1, v[6:7]
	s_xor_b32 s3, exec_lo, s2
	s_cbranch_execz .LBB2_36
; %bb.14:
	s_load_b128 s[4:7], s[0:1], 0x20
                                        ; implicit-def: $vgpr8_vgpr9
	s_mov_b32 s2, exec_lo
	v_mov_b32_e32 v10, 0
	s_wait_kmcnt 0x0
	s_mul_u64 s[8:9], s[4:5], s[6:7]
	s_delay_alu instid0(SALU_CYCLE_1) | instskip(NEXT) | instid1(VALU_DEP_1)
	v_or_b32_e32 v11, s9, v7
	v_cmpx_ne_u64_e32 0, v[10:11]
	s_xor_b32 s14, exec_lo, s2
	s_cbranch_execz .LBB2_16
; %bb.15:
	s_ashr_i32 s10, s9, 31
	s_mov_b32 s27, 0
	s_mov_b32 s11, s10
	v_dual_mov_b32 v15, v10 :: v_dual_ashrrev_i32 v8, 31, v7
	s_add_nc_u64 s[12:13], s[8:9], s[10:11]
	v_mov_b32_e32 v17, v10
	s_xor_b64 s[12:13], s[12:13], s[10:11]
	s_delay_alu instid0(VALU_DEP_2)
	v_mov_b32_e32 v9, v8
	s_cvt_f32_u32 s2, s12
	s_cvt_f32_u32 s9, s13
	s_sub_nc_u64 s[22:23], 0, s[12:13]
	v_mov_b32_e32 v23, v10
	v_add_nc_u64_e32 v[12:13], v[6:7], v[8:9]
	s_fmamk_f32 s2, s9, 0x4f800000, s2
	v_mov_b32_e32 v11, v10
	s_delay_alu instid0(SALU_CYCLE_2) | instskip(NEXT) | instid1(VALU_DEP_2)
	v_s_rcp_f32 s2, s2
	v_xor_b32_e32 v14, v12, v8
	s_delay_alu instid0(VALU_DEP_3) | instskip(SKIP_1) | instid1(TRANS32_DEP_1)
	v_xor_b32_e32 v16, v13, v8
	v_xor_b32_e32 v8, s10, v8
	s_mul_f32 s2, s2, 0x5f7ffffc
	s_delay_alu instid0(SALU_CYCLE_3) | instskip(NEXT) | instid1(SALU_CYCLE_3)
	s_mul_f32 s9, s2, 0x2f800000
	s_trunc_f32 s9, s9
	s_delay_alu instid0(SALU_CYCLE_3) | instskip(SKIP_1) | instid1(SALU_CYCLE_2)
	s_fmamk_f32 s2, s9, 0xcf800000, s2
	s_cvt_u32_f32 s21, s9
	s_cvt_u32_f32 s20, s2
	s_delay_alu instid0(SALU_CYCLE_3) | instskip(NEXT) | instid1(SALU_CYCLE_1)
	s_mul_u64 s[24:25], s[22:23], s[20:21]
	s_mul_hi_u32 s29, s20, s25
	s_mul_i32 s28, s20, s25
	s_mul_hi_u32 s26, s20, s24
	s_mul_i32 s9, s21, s24
	s_add_nc_u64 s[28:29], s[26:27], s[28:29]
	s_mul_hi_u32 s2, s21, s24
	s_mul_hi_u32 s11, s21, s25
	s_add_co_u32 s9, s28, s9
	s_add_co_ci_u32 s26, s29, s2
	s_mul_i32 s24, s21, s25
	s_add_co_ci_u32 s25, s11, 0
	s_delay_alu instid0(SALU_CYCLE_1) | instskip(NEXT) | instid1(SALU_CYCLE_1)
	s_add_nc_u64 s[24:25], s[26:27], s[24:25]
	s_add_co_u32 s20, s20, s24
	s_cselect_b32 s2, -1, 0
	s_delay_alu instid0(SALU_CYCLE_1) | instskip(SKIP_1) | instid1(SALU_CYCLE_1)
	s_cmp_lg_u32 s2, 0
	s_add_co_ci_u32 s21, s21, s25
	s_mul_u64 s[22:23], s[22:23], s[20:21]
	s_delay_alu instid0(SALU_CYCLE_1)
	s_mul_hi_u32 s25, s20, s23
	s_mul_i32 s24, s20, s23
	s_mul_hi_u32 s26, s20, s22
	s_mul_i32 s9, s21, s22
	s_add_nc_u64 s[24:25], s[26:27], s[24:25]
	s_mul_hi_u32 s2, s21, s22
	s_mul_hi_u32 s11, s21, s23
	s_add_co_u32 s9, s24, s9
	s_add_co_ci_u32 s26, s25, s2
	s_mul_i32 s22, s21, s23
	s_add_co_ci_u32 s23, s11, 0
	s_delay_alu instid0(SALU_CYCLE_1) | instskip(NEXT) | instid1(SALU_CYCLE_1)
	s_add_nc_u64 s[22:23], s[26:27], s[22:23]
	s_add_co_u32 s2, s20, s22
	s_cselect_b32 s9, -1, 0
	v_mul_hi_u32 v22, v14, s2
	s_cmp_lg_u32 s9, 0
	s_add_co_ci_u32 s26, s21, s23
	s_mov_b64 s[20:21], 0xffffffff
	v_mul_u64_e32 v[18:19], s[26:27], v[14:15]
	s_and_b64 s[20:21], s[2:3], s[20:21]
	v_mul_u64_e32 v[20:21], s[26:27], v[16:17]
	v_mul_u64_e32 v[12:13], s[20:21], v[16:17]
	s_delay_alu instid0(VALU_DEP_3) | instskip(NEXT) | instid1(VALU_DEP_1)
	v_add_nc_u64_e32 v[18:19], v[22:23], v[18:19]
	v_add_co_u32 v9, vcc_lo, v18, v12
	s_delay_alu instid0(VALU_DEP_2) | instskip(SKIP_1) | instid1(VALU_DEP_1)
	v_add_co_ci_u32_e32 v10, vcc_lo, v19, v13, vcc_lo
	v_add_co_ci_u32_e32 v21, vcc_lo, 0, v21, vcc_lo
	v_add_nc_u64_e32 v[10:11], v[10:11], v[20:21]
	s_delay_alu instid0(VALU_DEP_1) | instskip(NEXT) | instid1(VALU_DEP_1)
	v_mul_u64_e32 v[12:13], s[12:13], v[10:11]
	v_sub_nc_u32_e32 v9, v16, v13
	s_delay_alu instid0(VALU_DEP_2) | instskip(NEXT) | instid1(VALU_DEP_1)
	v_sub_co_u32 v12, vcc_lo, v14, v12
	v_sub_co_ci_u32_e64 v16, null, v16, v13, vcc_lo
	s_delay_alu instid0(VALU_DEP_3) | instskip(NEXT) | instid1(VALU_DEP_3)
	v_subrev_co_ci_u32_e64 v9, null, s13, v9, vcc_lo
	v_sub_co_u32 v14, s2, v12, s12
	s_delay_alu instid0(VALU_DEP_1) | instskip(NEXT) | instid1(VALU_DEP_2)
	v_subrev_co_ci_u32_e64 v9, null, 0, v9, s2
	v_cmp_le_u32_e32 vcc_lo, s12, v14
	v_cndmask_b32_e64 v13, 0, -1, vcc_lo
	s_delay_alu instid0(VALU_DEP_3)
	v_cmp_le_u32_e32 vcc_lo, s13, v9
	v_cndmask_b32_e64 v14, 0, -1, vcc_lo
	v_cmp_le_u32_e32 vcc_lo, s12, v12
	v_cndmask_b32_e64 v17, 0, -1, vcc_lo
	;; [unrolled: 2-line block ×3, first 2 shown]
	v_cmp_eq_u32_e32 vcc_lo, s13, v9
	v_cndmask_b32_e32 v9, v14, v13, vcc_lo
	v_cmp_eq_u32_e32 vcc_lo, s13, v16
	v_add_nc_u64_e32 v[12:13], 2, v[10:11]
	v_add_nc_u64_e32 v[14:15], 1, v[10:11]
	v_cndmask_b32_e32 v16, v18, v17, vcc_lo
	v_cmp_ne_u32_e32 vcc_lo, 0, v9
	s_delay_alu instid0(VALU_DEP_2) | instskip(NEXT) | instid1(VALU_DEP_4)
	v_cmp_ne_u32_e64 s2, 0, v16
	v_dual_cndmask_b32 v12, v14, v12 :: v_dual_cndmask_b32 v9, v15, v13
	s_delay_alu instid0(VALU_DEP_1) | instskip(NEXT) | instid1(VALU_DEP_1)
	v_dual_cndmask_b32 v10, v10, v12, s2 :: v_dual_cndmask_b32 v11, v11, v9, s2
	v_dual_mov_b32 v9, v8 :: v_dual_bitop2_b32 v10, v10, v8 bitop3:0x14
	s_delay_alu instid0(VALU_DEP_2) | instskip(NEXT) | instid1(VALU_DEP_1)
	v_xor_b32_e32 v11, v11, v8
	v_sub_nc_u64_e32 v[8:9], v[10:11], v[8:9]
.LBB2_16:
	s_and_not1_saveexec_b32 s2, s14
	s_cbranch_execz .LBB2_18
; %bb.17:
	v_cvt_f32_u32_e32 v8, s8
	s_sub_co_i32 s9, 0, s8
	s_delay_alu instid0(VALU_DEP_1) | instskip(SKIP_1) | instid1(TRANS32_DEP_1)
	v_rcp_iflag_f32_e32 v8, v8
	v_nop
	v_mul_f32_e32 v8, 0x4f7ffffe, v8
	s_delay_alu instid0(VALU_DEP_1) | instskip(NEXT) | instid1(VALU_DEP_1)
	v_cvt_u32_f32_e32 v8, v8
	v_mul_lo_u32 v9, s9, v8
	s_delay_alu instid0(VALU_DEP_1) | instskip(NEXT) | instid1(VALU_DEP_1)
	v_mul_hi_u32 v9, v8, v9
	v_add_nc_u32_e32 v8, v8, v9
	s_delay_alu instid0(VALU_DEP_1) | instskip(NEXT) | instid1(VALU_DEP_1)
	v_mul_hi_u32 v8, v6, v8
	v_mul_lo_u32 v9, v8, s8
	s_delay_alu instid0(VALU_DEP_1) | instskip(NEXT) | instid1(VALU_DEP_1)
	v_dual_add_nc_u32 v10, 1, v8 :: v_dual_sub_nc_u32 v9, v6, v9
	v_subrev_nc_u32_e32 v11, s8, v9
	v_cmp_le_u32_e32 vcc_lo, s8, v9
	s_delay_alu instid0(VALU_DEP_2) | instskip(NEXT) | instid1(VALU_DEP_1)
	v_dual_cndmask_b32 v9, v9, v11 :: v_dual_cndmask_b32 v8, v8, v10
	v_cmp_le_u32_e32 vcc_lo, s8, v9
	s_delay_alu instid0(VALU_DEP_2) | instskip(NEXT) | instid1(VALU_DEP_1)
	v_dual_mov_b32 v9, 0 :: v_dual_add_nc_u32 v10, 1, v8
	v_cndmask_b32_e32 v8, v8, v10, vcc_lo
.LBB2_18:
	s_or_b32 exec_lo, exec_lo, s2
	s_load_b64 s[8:9], s[0:1], 0x18
	s_mov_b32 s20, 0
	s_mov_b32 s2, exec_lo
	s_wait_kmcnt 0x0
	v_cmpx_le_i64_e64 s[8:9], v[8:9]
	s_xor_b32 s2, exec_lo, s2
	s_cbranch_execnz .LBB2_41
; %bb.19:
	s_and_not1_saveexec_b32 s21, s2
	s_cbranch_execz .LBB2_35
.LBB2_20:
	v_dual_mov_b32 v12, 0 :: v_dual_bitop2_b32 v13, s7, v7 bitop3:0x54
                                        ; implicit-def: $vgpr10_vgpr11
	s_mov_b32 s2, exec_lo
	s_delay_alu instid0(VALU_DEP_1)
	v_cmpx_ne_u64_e32 0, v[12:13]
	s_xor_b32 s12, exec_lo, s2
	s_cbranch_execz .LBB2_22
; %bb.21:
	s_ashr_i32 s8, s7, 31
	s_mov_b32 s27, 0
	s_mov_b32 s9, s8
	v_dual_mov_b32 v17, v12 :: v_dual_ashrrev_i32 v10, 31, v7
	s_add_nc_u64 s[10:11], s[6:7], s[8:9]
	v_mov_b32_e32 v19, v12
	s_xor_b64 s[10:11], s[10:11], s[8:9]
	s_delay_alu instid0(VALU_DEP_2)
	v_mov_b32_e32 v11, v10
	s_cvt_f32_u32 s2, s10
	s_cvt_f32_u32 s9, s11
	s_sub_nc_u64 s[22:23], 0, s[10:11]
	v_mov_b32_e32 v25, v12
	v_add_nc_u64_e32 v[14:15], v[6:7], v[10:11]
	s_fmamk_f32 s2, s9, 0x4f800000, s2
	v_mov_b32_e32 v13, v12
	s_delay_alu instid0(SALU_CYCLE_2) | instskip(NEXT) | instid1(VALU_DEP_2)
	v_s_rcp_f32 s2, s2
	v_xor_b32_e32 v16, v14, v10
	s_delay_alu instid0(VALU_DEP_3) | instskip(SKIP_1) | instid1(TRANS32_DEP_1)
	v_xor_b32_e32 v18, v15, v10
	v_xor_b32_e32 v10, s8, v10
	s_mul_f32 s2, s2, 0x5f7ffffc
	s_delay_alu instid0(SALU_CYCLE_3) | instskip(NEXT) | instid1(SALU_CYCLE_3)
	s_mul_f32 s9, s2, 0x2f800000
	s_trunc_f32 s9, s9
	s_delay_alu instid0(SALU_CYCLE_3) | instskip(SKIP_1) | instid1(SALU_CYCLE_2)
	s_fmamk_f32 s2, s9, 0xcf800000, s2
	s_cvt_u32_f32 s15, s9
	s_cvt_u32_f32 s14, s2
	s_delay_alu instid0(SALU_CYCLE_3) | instskip(NEXT) | instid1(SALU_CYCLE_1)
	s_mul_u64 s[24:25], s[22:23], s[14:15]
	s_mul_hi_u32 s29, s14, s25
	s_mul_i32 s28, s14, s25
	s_mul_hi_u32 s26, s14, s24
	s_mul_i32 s9, s15, s24
	s_add_nc_u64 s[28:29], s[26:27], s[28:29]
	s_mul_hi_u32 s2, s15, s24
	s_mul_hi_u32 s13, s15, s25
	s_add_co_u32 s9, s28, s9
	s_add_co_ci_u32 s26, s29, s2
	s_mul_i32 s24, s15, s25
	s_add_co_ci_u32 s25, s13, 0
	s_delay_alu instid0(SALU_CYCLE_1) | instskip(NEXT) | instid1(SALU_CYCLE_1)
	s_add_nc_u64 s[24:25], s[26:27], s[24:25]
	s_add_co_u32 s14, s14, s24
	s_cselect_b32 s2, -1, 0
	s_delay_alu instid0(SALU_CYCLE_1) | instskip(SKIP_1) | instid1(SALU_CYCLE_1)
	s_cmp_lg_u32 s2, 0
	s_add_co_ci_u32 s15, s15, s25
	s_mul_u64 s[22:23], s[22:23], s[14:15]
	s_delay_alu instid0(SALU_CYCLE_1)
	s_mul_hi_u32 s25, s14, s23
	s_mul_i32 s24, s14, s23
	s_mul_hi_u32 s26, s14, s22
	s_mul_i32 s9, s15, s22
	s_add_nc_u64 s[24:25], s[26:27], s[24:25]
	s_mul_hi_u32 s2, s15, s22
	s_mul_hi_u32 s13, s15, s23
	s_add_co_u32 s9, s24, s9
	s_add_co_ci_u32 s26, s25, s2
	s_mul_i32 s22, s15, s23
	s_add_co_ci_u32 s23, s13, 0
	s_delay_alu instid0(SALU_CYCLE_1) | instskip(NEXT) | instid1(SALU_CYCLE_1)
	s_add_nc_u64 s[22:23], s[26:27], s[22:23]
	s_add_co_u32 s2, s14, s22
	s_cselect_b32 s9, -1, 0
	v_mul_hi_u32 v24, v16, s2
	s_cmp_lg_u32 s9, 0
	s_add_co_ci_u32 s26, s15, s23
	s_mov_b64 s[14:15], 0xffffffff
	v_mul_u64_e32 v[20:21], s[26:27], v[16:17]
	s_and_b64 s[14:15], s[2:3], s[14:15]
	v_mul_u64_e32 v[22:23], s[26:27], v[18:19]
	v_mul_u64_e32 v[14:15], s[14:15], v[18:19]
	s_delay_alu instid0(VALU_DEP_3) | instskip(NEXT) | instid1(VALU_DEP_1)
	v_add_nc_u64_e32 v[20:21], v[24:25], v[20:21]
	v_add_co_u32 v11, vcc_lo, v20, v14
	s_delay_alu instid0(VALU_DEP_2) | instskip(SKIP_1) | instid1(VALU_DEP_1)
	v_add_co_ci_u32_e32 v12, vcc_lo, v21, v15, vcc_lo
	v_add_co_ci_u32_e32 v23, vcc_lo, 0, v23, vcc_lo
	v_add_nc_u64_e32 v[12:13], v[12:13], v[22:23]
	s_delay_alu instid0(VALU_DEP_1) | instskip(NEXT) | instid1(VALU_DEP_1)
	v_mul_u64_e32 v[14:15], s[10:11], v[12:13]
	v_sub_nc_u32_e32 v11, v18, v15
	s_delay_alu instid0(VALU_DEP_2) | instskip(NEXT) | instid1(VALU_DEP_1)
	v_sub_co_u32 v14, vcc_lo, v16, v14
	v_sub_co_ci_u32_e64 v18, null, v18, v15, vcc_lo
	s_delay_alu instid0(VALU_DEP_3) | instskip(NEXT) | instid1(VALU_DEP_3)
	v_subrev_co_ci_u32_e64 v11, null, s11, v11, vcc_lo
	v_sub_co_u32 v16, s2, v14, s10
	s_delay_alu instid0(VALU_DEP_1) | instskip(NEXT) | instid1(VALU_DEP_2)
	v_subrev_co_ci_u32_e64 v11, null, 0, v11, s2
	v_cmp_le_u32_e32 vcc_lo, s10, v16
	v_cndmask_b32_e64 v15, 0, -1, vcc_lo
	s_delay_alu instid0(VALU_DEP_3)
	v_cmp_le_u32_e32 vcc_lo, s11, v11
	v_cndmask_b32_e64 v16, 0, -1, vcc_lo
	v_cmp_le_u32_e32 vcc_lo, s10, v14
	v_cndmask_b32_e64 v19, 0, -1, vcc_lo
	;; [unrolled: 2-line block ×3, first 2 shown]
	v_cmp_eq_u32_e32 vcc_lo, s11, v11
	v_cndmask_b32_e32 v11, v16, v15, vcc_lo
	v_cmp_eq_u32_e32 vcc_lo, s11, v18
	v_add_nc_u64_e32 v[14:15], 2, v[12:13]
	v_add_nc_u64_e32 v[16:17], 1, v[12:13]
	v_cndmask_b32_e32 v18, v20, v19, vcc_lo
	v_cmp_ne_u32_e32 vcc_lo, 0, v11
	s_delay_alu instid0(VALU_DEP_2) | instskip(NEXT) | instid1(VALU_DEP_4)
	v_cmp_ne_u32_e64 s2, 0, v18
	v_dual_cndmask_b32 v14, v16, v14 :: v_dual_cndmask_b32 v11, v17, v15
	s_delay_alu instid0(VALU_DEP_1) | instskip(NEXT) | instid1(VALU_DEP_1)
	v_dual_cndmask_b32 v12, v12, v14, s2 :: v_dual_cndmask_b32 v13, v13, v11, s2
	v_dual_mov_b32 v11, v10 :: v_dual_bitop2_b32 v12, v12, v10 bitop3:0x14
	s_delay_alu instid0(VALU_DEP_2) | instskip(NEXT) | instid1(VALU_DEP_1)
	v_xor_b32_e32 v13, v13, v10
	v_sub_nc_u64_e32 v[10:11], v[12:13], v[10:11]
.LBB2_22:
	s_and_not1_saveexec_b32 s2, s12
	s_cbranch_execz .LBB2_24
; %bb.23:
	v_cvt_f32_u32_e32 v10, s6
	s_sub_co_i32 s8, 0, s6
	s_delay_alu instid0(VALU_DEP_1) | instskip(SKIP_1) | instid1(TRANS32_DEP_1)
	v_rcp_iflag_f32_e32 v10, v10
	v_nop
	v_mul_f32_e32 v10, 0x4f7ffffe, v10
	s_delay_alu instid0(VALU_DEP_1) | instskip(NEXT) | instid1(VALU_DEP_1)
	v_cvt_u32_f32_e32 v10, v10
	v_mul_lo_u32 v11, s8, v10
	s_delay_alu instid0(VALU_DEP_1) | instskip(NEXT) | instid1(VALU_DEP_1)
	v_mul_hi_u32 v11, v10, v11
	v_add_nc_u32_e32 v10, v10, v11
	s_delay_alu instid0(VALU_DEP_1) | instskip(NEXT) | instid1(VALU_DEP_1)
	v_mul_hi_u32 v10, v6, v10
	v_mul_lo_u32 v11, v10, s6
	s_delay_alu instid0(VALU_DEP_1) | instskip(NEXT) | instid1(VALU_DEP_1)
	v_dual_add_nc_u32 v12, 1, v10 :: v_dual_sub_nc_u32 v11, v6, v11
	v_subrev_nc_u32_e32 v13, s6, v11
	v_cmp_le_u32_e32 vcc_lo, s6, v11
	s_delay_alu instid0(VALU_DEP_2) | instskip(NEXT) | instid1(VALU_DEP_1)
	v_dual_cndmask_b32 v11, v11, v13 :: v_dual_cndmask_b32 v10, v10, v12
	v_cmp_le_u32_e32 vcc_lo, s6, v11
	s_delay_alu instid0(VALU_DEP_2) | instskip(NEXT) | instid1(VALU_DEP_1)
	v_dual_mov_b32 v11, 0 :: v_dual_add_nc_u32 v12, 1, v10
	v_cndmask_b32_e32 v10, v10, v12, vcc_lo
.LBB2_24:
	s_or_b32 exec_lo, exec_lo, s2
	s_delay_alu instid0(VALU_DEP_1) | instskip(SKIP_1) | instid1(VALU_DEP_1)
	v_dual_mov_b32 v12, 0 :: v_dual_bitop2_b32 v13, s5, v11 bitop3:0x54
                                        ; implicit-def: $vgpr14_vgpr15
	s_mov_b32 s2, exec_lo
	v_cmpx_ne_u64_e32 0, v[12:13]
	s_xor_b32 s10, exec_lo, s2
	s_cbranch_execz .LBB2_26
; %bb.25:
	s_ashr_i32 s8, s5, 31
	s_mov_b32 s25, 0
	s_mov_b32 s9, s8
	v_dual_mov_b32 v19, v12 :: v_dual_ashrrev_i32 v14, 31, v11
	s_add_nc_u64 s[12:13], s[4:5], s[8:9]
	v_dual_mov_b32 v27, v12 :: v_dual_mov_b32 v13, v12
	s_xor_b64 s[8:9], s[12:13], s[8:9]
	s_delay_alu instid0(VALU_DEP_2) | instskip(SKIP_3) | instid1(VALU_DEP_1)
	v_mov_b32_e32 v15, v14
	s_cvt_f32_u32 s2, s8
	s_cvt_f32_u32 s5, s9
	s_sub_nc_u64 s[14:15], 0, s[8:9]
	v_add_nc_u64_e32 v[16:17], v[10:11], v[14:15]
	s_delay_alu instid0(SALU_CYCLE_1) | instskip(SKIP_1) | instid1(SALU_CYCLE_2)
	s_fmamk_f32 s2, s5, 0x4f800000, s2
	v_mov_b32_e32 v21, v12
	v_s_rcp_f32 s2, s2
	s_delay_alu instid0(VALU_DEP_2) | instskip(NEXT) | instid1(VALU_DEP_3)
	v_xor_b32_e32 v18, v16, v14
	v_xor_b32_e32 v20, v17, v14
	s_delay_alu instid0(TRANS32_DEP_1) | instskip(NEXT) | instid1(SALU_CYCLE_3)
	s_mul_f32 s2, s2, 0x5f7ffffc
	s_mul_f32 s5, s2, 0x2f800000
	s_delay_alu instid0(SALU_CYCLE_3) | instskip(NEXT) | instid1(SALU_CYCLE_3)
	s_trunc_f32 s5, s5
	s_fmamk_f32 s2, s5, 0xcf800000, s2
	s_cvt_u32_f32 s13, s5
	s_delay_alu instid0(SALU_CYCLE_2) | instskip(NEXT) | instid1(SALU_CYCLE_3)
	s_cvt_u32_f32 s12, s2
	s_mul_u64 s[22:23], s[14:15], s[12:13]
	s_delay_alu instid0(SALU_CYCLE_1)
	s_mul_hi_u32 s27, s12, s23
	s_mul_i32 s26, s12, s23
	s_mul_hi_u32 s24, s12, s22
	s_mul_i32 s5, s13, s22
	s_add_nc_u64 s[26:27], s[24:25], s[26:27]
	s_mul_hi_u32 s2, s13, s22
	s_mul_hi_u32 s11, s13, s23
	s_add_co_u32 s5, s26, s5
	s_add_co_ci_u32 s24, s27, s2
	s_mul_i32 s22, s13, s23
	s_add_co_ci_u32 s23, s11, 0
	s_delay_alu instid0(SALU_CYCLE_1) | instskip(NEXT) | instid1(SALU_CYCLE_1)
	s_add_nc_u64 s[22:23], s[24:25], s[22:23]
	s_add_co_u32 s12, s12, s22
	s_cselect_b32 s2, -1, 0
	s_delay_alu instid0(SALU_CYCLE_1) | instskip(SKIP_1) | instid1(SALU_CYCLE_1)
	s_cmp_lg_u32 s2, 0
	s_add_co_ci_u32 s13, s13, s23
	s_mul_u64 s[14:15], s[14:15], s[12:13]
	s_delay_alu instid0(SALU_CYCLE_1)
	s_mul_hi_u32 s23, s12, s15
	s_mul_i32 s22, s12, s15
	s_mul_hi_u32 s24, s12, s14
	s_mul_i32 s5, s13, s14
	s_add_nc_u64 s[22:23], s[24:25], s[22:23]
	s_mul_hi_u32 s2, s13, s14
	s_mul_hi_u32 s11, s13, s15
	s_add_co_u32 s5, s22, s5
	s_add_co_ci_u32 s24, s23, s2
	s_mul_i32 s14, s13, s15
	s_add_co_ci_u32 s15, s11, 0
	s_delay_alu instid0(SALU_CYCLE_1) | instskip(NEXT) | instid1(SALU_CYCLE_1)
	s_add_nc_u64 s[14:15], s[24:25], s[14:15]
	s_add_co_u32 s2, s12, s14
	s_cselect_b32 s5, -1, 0
	v_mul_hi_u32 v26, v18, s2
	s_cmp_lg_u32 s5, 0
	s_add_co_ci_u32 s24, s13, s15
	s_mov_b64 s[12:13], 0xffffffff
	v_mul_u64_e32 v[22:23], s[24:25], v[18:19]
	s_and_b64 s[12:13], s[2:3], s[12:13]
	v_mul_u64_e32 v[24:25], s[24:25], v[20:21]
	v_mul_u64_e32 v[16:17], s[12:13], v[20:21]
	s_delay_alu instid0(VALU_DEP_3) | instskip(NEXT) | instid1(VALU_DEP_1)
	v_add_nc_u64_e32 v[22:23], v[26:27], v[22:23]
	v_add_co_u32 v12, vcc_lo, v22, v16
	s_delay_alu instid0(VALU_DEP_2) | instskip(SKIP_1) | instid1(VALU_DEP_1)
	v_add_co_ci_u32_e32 v12, vcc_lo, v23, v17, vcc_lo
	v_add_co_ci_u32_e32 v25, vcc_lo, 0, v25, vcc_lo
	v_add_nc_u64_e32 v[12:13], v[12:13], v[24:25]
	s_delay_alu instid0(VALU_DEP_1) | instskip(NEXT) | instid1(VALU_DEP_1)
	v_mul_u64_e32 v[12:13], s[8:9], v[12:13]
	v_sub_nc_u32_e32 v16, v20, v13
	s_delay_alu instid0(VALU_DEP_2) | instskip(NEXT) | instid1(VALU_DEP_1)
	v_sub_co_u32 v12, vcc_lo, v18, v12
	v_sub_co_ci_u32_e64 v13, null, v20, v13, vcc_lo
	s_delay_alu instid0(VALU_DEP_3) | instskip(NEXT) | instid1(VALU_DEP_3)
	v_subrev_co_ci_u32_e64 v16, null, s9, v16, vcc_lo
	v_sub_co_u32 v17, vcc_lo, v12, s8
	v_cmp_le_u32_e64 s2, s8, v12
	s_delay_alu instid0(VALU_DEP_3) | instskip(SKIP_1) | instid1(VALU_DEP_3)
	v_subrev_co_ci_u32_e64 v18, null, 0, v16, vcc_lo
	v_subrev_co_ci_u32_e64 v16, null, s9, v16, vcc_lo
	v_cndmask_b32_e64 v19, 0, -1, s2
	v_cmp_le_u32_e64 s2, s8, v17
	v_cmp_le_u32_e32 vcc_lo, s9, v13
	s_delay_alu instid0(VALU_DEP_2) | instskip(SKIP_3) | instid1(VALU_DEP_3)
	v_cndmask_b32_e64 v20, 0, -1, s2
	v_cmp_le_u32_e64 s2, s9, v18
	v_cndmask_b32_e64 v22, 0, -1, vcc_lo
	v_cmp_eq_u32_e32 vcc_lo, s9, v18
	v_cndmask_b32_e64 v21, 0, -1, s2
	v_cmp_eq_u32_e64 s2, s9, v13
	s_delay_alu instid0(VALU_DEP_2) | instskip(SKIP_1) | instid1(VALU_DEP_1)
	v_cndmask_b32_e32 v20, v21, v20, vcc_lo
	v_sub_co_u32 v21, vcc_lo, v17, s8
	v_subrev_co_ci_u32_e64 v16, null, 0, v16, vcc_lo
	s_delay_alu instid0(VALU_DEP_3) | instskip(NEXT) | instid1(VALU_DEP_3)
	v_cmp_ne_u32_e32 vcc_lo, 0, v20
	v_dual_cndmask_b32 v19, v22, v19, s2 :: v_dual_cndmask_b32 v17, v17, v21, vcc_lo
	s_delay_alu instid0(VALU_DEP_3) | instskip(NEXT) | instid1(VALU_DEP_2)
	v_cndmask_b32_e32 v16, v18, v16, vcc_lo
	v_cmp_ne_u32_e32 vcc_lo, 0, v19
	s_delay_alu instid0(VALU_DEP_2) | instskip(NEXT) | instid1(VALU_DEP_1)
	v_dual_cndmask_b32 v12, v12, v17 :: v_dual_cndmask_b32 v13, v13, v16
	v_xor_b32_e32 v12, v12, v14
	s_delay_alu instid0(VALU_DEP_2) | instskip(NEXT) | instid1(VALU_DEP_1)
	v_xor_b32_e32 v13, v13, v14
	v_sub_nc_u64_e32 v[14:15], v[12:13], v[14:15]
.LBB2_26:
	s_and_not1_saveexec_b32 s2, s10
	s_cbranch_execz .LBB2_28
; %bb.27:
	v_cvt_f32_u32_e32 v12, s4
	s_sub_co_i32 s5, 0, s4
	v_mov_b32_e32 v15, 0
	s_delay_alu instid0(VALU_DEP_2) | instskip(SKIP_1) | instid1(TRANS32_DEP_1)
	v_rcp_iflag_f32_e32 v12, v12
	v_nop
	v_mul_f32_e32 v12, 0x4f7ffffe, v12
	s_delay_alu instid0(VALU_DEP_1) | instskip(NEXT) | instid1(VALU_DEP_1)
	v_cvt_u32_f32_e32 v12, v12
	v_mul_lo_u32 v13, s5, v12
	s_delay_alu instid0(VALU_DEP_1) | instskip(NEXT) | instid1(VALU_DEP_1)
	v_mul_hi_u32 v13, v12, v13
	v_add_nc_u32_e32 v12, v12, v13
	s_delay_alu instid0(VALU_DEP_1) | instskip(NEXT) | instid1(VALU_DEP_1)
	v_mul_hi_u32 v12, v10, v12
	v_mul_lo_u32 v12, v12, s4
	s_delay_alu instid0(VALU_DEP_1) | instskip(NEXT) | instid1(VALU_DEP_1)
	v_sub_nc_u32_e32 v12, v10, v12
	v_subrev_nc_u32_e32 v13, s4, v12
	v_cmp_le_u32_e32 vcc_lo, s4, v12
	s_delay_alu instid0(VALU_DEP_2) | instskip(NEXT) | instid1(VALU_DEP_1)
	v_cndmask_b32_e32 v12, v12, v13, vcc_lo
	v_subrev_nc_u32_e32 v13, s4, v12
	v_cmp_le_u32_e32 vcc_lo, s4, v12
	s_delay_alu instid0(VALU_DEP_2)
	v_cndmask_b32_e32 v14, v12, v13, vcc_lo
.LBB2_28:
	s_or_b32 exec_lo, exec_lo, s2
	v_mul_u64_e32 v[10:11], s[6:7], v[10:11]
	s_clause 0x2
	s_load_b256 s[4:11], s[0:1], 0x30
	s_load_b128 s[12:15], s[0:1], 0x50
	s_load_b256 s[24:31], s[0:1], 0x88
	s_mov_b32 s2, 0
	s_wait_kmcnt 0x0
	v_mul_u64_e32 v[8:9], s[8:9], v[8:9]
	v_mul_u64_e32 v[2:3], s[28:29], v[2:3]
	;; [unrolled: 1-line block ×3, first 2 shown]
	s_delay_alu instid0(VALU_DEP_4)
	v_sub_nc_u64_e32 v[6:7], v[6:7], v[10:11]
	v_mul_u64_e32 v[10:11], s[10:11], v[14:15]
	s_clause 0x1
	s_load_b64 s[8:9], s[0:1], 0x0
	s_load_b64 s[10:11], s[0:1], 0xa8
	s_wait_xcnt 0x0
	s_mul_u64 s[0:1], s[4:5], s[18:19]
	s_mul_u64 s[4:5], s[6:7], s[16:17]
	s_lshl_b64 s[0:1], s[0:1], 1
	s_lshl_b64 s[4:5], s[4:5], 1
	v_mul_u64_e32 v[6:7], s[12:13], v[6:7]
	s_wait_kmcnt 0x0
	s_add_nc_u64 s[0:1], s[8:9], s[0:1]
	v_mul_u64_e32 v[4:5], s[10:11], v[4:5]
	s_add_nc_u64 s[0:1], s[0:1], s[4:5]
	s_mul_u64 s[4:5], s[26:27], s[16:17]
	v_lshl_add_u64 v[8:9], v[8:9], 1, s[0:1]
	s_mul_u64 s[0:1], s[24:25], s[18:19]
	s_lshl_b64 s[4:5], s[4:5], 1
	s_lshl_b64 s[0:1], s[0:1], 1
	s_delay_alu instid0(SALU_CYCLE_1) | instskip(NEXT) | instid1(SALU_CYCLE_1)
	s_add_nc_u64 s[0:1], s[14:15], s[0:1]
	s_add_nc_u64 s[0:1], s[0:1], s[4:5]
	s_delay_alu instid0(VALU_DEP_4) | instskip(SKIP_1) | instid1(VALU_DEP_1)
	v_lshl_add_u64 v[8:9], v[10:11], 1, v[8:9]
	v_lshl_add_u64 v[2:3], v[2:3], 1, s[0:1]
	;; [unrolled: 1-line block ×3, first 2 shown]
	s_delay_alu instid0(VALU_DEP_3) | instskip(NEXT) | instid1(VALU_DEP_1)
	v_lshl_add_u64 v[6:7], v[6:7], 1, v[8:9]
	v_dual_mov_b32 v9, 0 :: v_dual_bitop2_b32 v8, 2, v6 bitop3:0x40
	s_delay_alu instid0(VALU_DEP_1) | instskip(SKIP_2) | instid1(VALU_DEP_3)
	v_sub_nc_u64_e32 v[10:11], 0, v[8:9]
	v_cmp_ne_u32_e64 s0, 0, v8
	v_cmp_eq_u64_e32 vcc_lo, 0, v[8:9]
	v_add_nc_u64_e32 v[0:1], v[6:7], v[10:11]
	v_lshl_add_u64 v[6:7], v[4:5], 1, v[2:3]
	global_load_u16 v4, v[6:7], off
	global_load_b32 v3, v[0:1], off
	s_branch .LBB2_30
.LBB2_29:                               ;   in Loop: Header=BB2_30 Depth=1
	s_or_b32 exec_lo, exec_lo, s1
	global_atomic_cmpswap_b32 v2, v[0:1], v[2:3], off th:TH_ATOMIC_RETURN scope:SCOPE_DEV
	s_wait_loadcnt 0x0
	v_cmp_eq_u32_e64 s1, v3, v2
	v_mov_b32_e32 v3, v2
	s_or_b32 s2, s1, s2
	s_delay_alu instid0(SALU_CYCLE_1)
	s_and_not1_b32 exec_lo, exec_lo, s2
	s_cbranch_execz .LBB2_34
.LBB2_30:                               ; =>This Inner Loop Header: Depth=1
	s_wait_loadcnt 0x0
	v_lshrrev_b32_e32 v2, 16, v3
	s_delay_alu instid0(VALU_DEP_1) | instskip(NEXT) | instid1(VALU_DEP_1)
	v_cndmask_b32_e32 v2, v2, v3, vcc_lo
	v_add_f16_e32 v2, v4, v2
	s_delay_alu instid0(VALU_DEP_1) | instskip(SKIP_1) | instid1(SALU_CYCLE_1)
	v_and_b32_e32 v5, 0xffff, v2
	s_and_saveexec_b32 s1, s0
	s_xor_b32 s1, exec_lo, s1
; %bb.31:                               ;   in Loop: Header=BB2_30 Depth=1
	v_and_b32_e32 v2, 0xffff, v3
	s_delay_alu instid0(VALU_DEP_1)
	v_lshl_or_b32 v2, v5, 16, v2
                                        ; implicit-def: $vgpr5
; %bb.32:                               ;   in Loop: Header=BB2_30 Depth=1
	s_and_not1_saveexec_b32 s1, s1
	s_cbranch_execz .LBB2_29
; %bb.33:                               ;   in Loop: Header=BB2_30 Depth=1
	v_and_or_b32 v2, 0xffff0000, v3, v5
	s_branch .LBB2_29
.LBB2_34:
	s_or_b32 exec_lo, exec_lo, s2
.LBB2_35:
	s_delay_alu instid0(SALU_CYCLE_1) | instskip(NEXT) | instid1(SALU_CYCLE_1)
	s_or_b32 exec_lo, exec_lo, s21
	s_and_b32 s17, s20, exec_lo
.LBB2_36:
	s_and_not1_saveexec_b32 s0, s3
	s_cbranch_execnz .LBB2_40
; %bb.37:
	s_or_b32 exec_lo, exec_lo, s0
	s_delay_alu instid0(SALU_CYCLE_1)
	s_and_b32 exec_lo, exec_lo, s17
.LBB2_38:
	; divergent unreachable
.LBB2_39:
	s_endpgm
.LBB2_40:
	s_or_b32 s17, s17, exec_lo
	s_trap 2
	s_or_b32 exec_lo, exec_lo, s0
	s_delay_alu instid0(SALU_CYCLE_1)
	s_and_b32 exec_lo, exec_lo, s17
	s_cbranch_execnz .LBB2_38
	s_branch .LBB2_39
.LBB2_41:
	s_mov_b32 s20, exec_lo
	s_trap 2
                                        ; implicit-def: $vgpr6_vgpr7
                                        ; implicit-def: $vgpr8_vgpr9
                                        ; implicit-def: $vgpr2_vgpr3
                                        ; implicit-def: $vgpr0_vgpr1
                                        ; implicit-def: $vgpr4_vgpr5
	s_and_not1_saveexec_b32 s21, s2
	s_cbranch_execnz .LBB2_20
	s_branch .LBB2_35
	.section	.rodata,"a",@progbits
	.p2align	6, 0x0
	.amdhsa_kernel _ZN2at6native12_GLOBAL__N_140fractional_max_pool3d_backward_out_frameIN3c104HalfEEEvN5torch10headeronly6detail27GenericPackedTensorAccessorINS7_14TensorAccessorINS3_8ArrayRefIlEET_Lm4ENS6_16DefaultPtrTraitsElEENS_6detail16IndexBoundsCheckILm5ElEESC_Lm5ESD_lEENS8_INS9_ISB_KSC_Lm4ESD_lEESH_SJ_Lm5ESD_lEENS8_INS9_ISB_KlLm4ESD_lEESH_SM_Lm5ESD_lEE
		.amdhsa_group_segment_fixed_size 0
		.amdhsa_private_segment_fixed_size 0
		.amdhsa_kernarg_size 520
		.amdhsa_user_sgpr_count 2
		.amdhsa_user_sgpr_dispatch_ptr 0
		.amdhsa_user_sgpr_queue_ptr 0
		.amdhsa_user_sgpr_kernarg_segment_ptr 1
		.amdhsa_user_sgpr_dispatch_id 0
		.amdhsa_user_sgpr_kernarg_preload_length 0
		.amdhsa_user_sgpr_kernarg_preload_offset 0
		.amdhsa_user_sgpr_private_segment_size 0
		.amdhsa_wavefront_size32 1
		.amdhsa_uses_dynamic_stack 0
		.amdhsa_enable_private_segment 0
		.amdhsa_system_sgpr_workgroup_id_x 1
		.amdhsa_system_sgpr_workgroup_id_y 1
		.amdhsa_system_sgpr_workgroup_id_z 1
		.amdhsa_system_sgpr_workgroup_info 0
		.amdhsa_system_vgpr_workitem_id 0
		.amdhsa_next_free_vgpr 28
		.amdhsa_next_free_sgpr 32
		.amdhsa_named_barrier_count 0
		.amdhsa_reserve_vcc 1
		.amdhsa_float_round_mode_32 0
		.amdhsa_float_round_mode_16_64 0
		.amdhsa_float_denorm_mode_32 3
		.amdhsa_float_denorm_mode_16_64 3
		.amdhsa_fp16_overflow 0
		.amdhsa_memory_ordered 1
		.amdhsa_forward_progress 1
		.amdhsa_inst_pref_size 43
		.amdhsa_round_robin_scheduling 0
		.amdhsa_exception_fp_ieee_invalid_op 0
		.amdhsa_exception_fp_denorm_src 0
		.amdhsa_exception_fp_ieee_div_zero 0
		.amdhsa_exception_fp_ieee_overflow 0
		.amdhsa_exception_fp_ieee_underflow 0
		.amdhsa_exception_fp_ieee_inexact 0
		.amdhsa_exception_int_div_zero 0
	.end_amdhsa_kernel
	.section	.text._ZN2at6native12_GLOBAL__N_140fractional_max_pool3d_backward_out_frameIN3c104HalfEEEvN5torch10headeronly6detail27GenericPackedTensorAccessorINS7_14TensorAccessorINS3_8ArrayRefIlEET_Lm4ENS6_16DefaultPtrTraitsElEENS_6detail16IndexBoundsCheckILm5ElEESC_Lm5ESD_lEENS8_INS9_ISB_KSC_Lm4ESD_lEESH_SJ_Lm5ESD_lEENS8_INS9_ISB_KlLm4ESD_lEESH_SM_Lm5ESD_lEE,"axG",@progbits,_ZN2at6native12_GLOBAL__N_140fractional_max_pool3d_backward_out_frameIN3c104HalfEEEvN5torch10headeronly6detail27GenericPackedTensorAccessorINS7_14TensorAccessorINS3_8ArrayRefIlEET_Lm4ENS6_16DefaultPtrTraitsElEENS_6detail16IndexBoundsCheckILm5ElEESC_Lm5ESD_lEENS8_INS9_ISB_KSC_Lm4ESD_lEESH_SJ_Lm5ESD_lEENS8_INS9_ISB_KlLm4ESD_lEESH_SM_Lm5ESD_lEE,comdat
.Lfunc_end2:
	.size	_ZN2at6native12_GLOBAL__N_140fractional_max_pool3d_backward_out_frameIN3c104HalfEEEvN5torch10headeronly6detail27GenericPackedTensorAccessorINS7_14TensorAccessorINS3_8ArrayRefIlEET_Lm4ENS6_16DefaultPtrTraitsElEENS_6detail16IndexBoundsCheckILm5ElEESC_Lm5ESD_lEENS8_INS9_ISB_KSC_Lm4ESD_lEESH_SJ_Lm5ESD_lEENS8_INS9_ISB_KlLm4ESD_lEESH_SM_Lm5ESD_lEE, .Lfunc_end2-_ZN2at6native12_GLOBAL__N_140fractional_max_pool3d_backward_out_frameIN3c104HalfEEEvN5torch10headeronly6detail27GenericPackedTensorAccessorINS7_14TensorAccessorINS3_8ArrayRefIlEET_Lm4ENS6_16DefaultPtrTraitsElEENS_6detail16IndexBoundsCheckILm5ElEESC_Lm5ESD_lEENS8_INS9_ISB_KSC_Lm4ESD_lEESH_SJ_Lm5ESD_lEENS8_INS9_ISB_KlLm4ESD_lEESH_SM_Lm5ESD_lEE
                                        ; -- End function
	.set _ZN2at6native12_GLOBAL__N_140fractional_max_pool3d_backward_out_frameIN3c104HalfEEEvN5torch10headeronly6detail27GenericPackedTensorAccessorINS7_14TensorAccessorINS3_8ArrayRefIlEET_Lm4ENS6_16DefaultPtrTraitsElEENS_6detail16IndexBoundsCheckILm5ElEESC_Lm5ESD_lEENS8_INS9_ISB_KSC_Lm4ESD_lEESH_SJ_Lm5ESD_lEENS8_INS9_ISB_KlLm4ESD_lEESH_SM_Lm5ESD_lEE.num_vgpr, 28
	.set _ZN2at6native12_GLOBAL__N_140fractional_max_pool3d_backward_out_frameIN3c104HalfEEEvN5torch10headeronly6detail27GenericPackedTensorAccessorINS7_14TensorAccessorINS3_8ArrayRefIlEET_Lm4ENS6_16DefaultPtrTraitsElEENS_6detail16IndexBoundsCheckILm5ElEESC_Lm5ESD_lEENS8_INS9_ISB_KSC_Lm4ESD_lEESH_SJ_Lm5ESD_lEENS8_INS9_ISB_KlLm4ESD_lEESH_SM_Lm5ESD_lEE.num_agpr, 0
	.set _ZN2at6native12_GLOBAL__N_140fractional_max_pool3d_backward_out_frameIN3c104HalfEEEvN5torch10headeronly6detail27GenericPackedTensorAccessorINS7_14TensorAccessorINS3_8ArrayRefIlEET_Lm4ENS6_16DefaultPtrTraitsElEENS_6detail16IndexBoundsCheckILm5ElEESC_Lm5ESD_lEENS8_INS9_ISB_KSC_Lm4ESD_lEESH_SJ_Lm5ESD_lEENS8_INS9_ISB_KlLm4ESD_lEESH_SM_Lm5ESD_lEE.numbered_sgpr, 32
	.set _ZN2at6native12_GLOBAL__N_140fractional_max_pool3d_backward_out_frameIN3c104HalfEEEvN5torch10headeronly6detail27GenericPackedTensorAccessorINS7_14TensorAccessorINS3_8ArrayRefIlEET_Lm4ENS6_16DefaultPtrTraitsElEENS_6detail16IndexBoundsCheckILm5ElEESC_Lm5ESD_lEENS8_INS9_ISB_KSC_Lm4ESD_lEESH_SJ_Lm5ESD_lEENS8_INS9_ISB_KlLm4ESD_lEESH_SM_Lm5ESD_lEE.num_named_barrier, 0
	.set _ZN2at6native12_GLOBAL__N_140fractional_max_pool3d_backward_out_frameIN3c104HalfEEEvN5torch10headeronly6detail27GenericPackedTensorAccessorINS7_14TensorAccessorINS3_8ArrayRefIlEET_Lm4ENS6_16DefaultPtrTraitsElEENS_6detail16IndexBoundsCheckILm5ElEESC_Lm5ESD_lEENS8_INS9_ISB_KSC_Lm4ESD_lEESH_SJ_Lm5ESD_lEENS8_INS9_ISB_KlLm4ESD_lEESH_SM_Lm5ESD_lEE.private_seg_size, 0
	.set _ZN2at6native12_GLOBAL__N_140fractional_max_pool3d_backward_out_frameIN3c104HalfEEEvN5torch10headeronly6detail27GenericPackedTensorAccessorINS7_14TensorAccessorINS3_8ArrayRefIlEET_Lm4ENS6_16DefaultPtrTraitsElEENS_6detail16IndexBoundsCheckILm5ElEESC_Lm5ESD_lEENS8_INS9_ISB_KSC_Lm4ESD_lEESH_SJ_Lm5ESD_lEENS8_INS9_ISB_KlLm4ESD_lEESH_SM_Lm5ESD_lEE.uses_vcc, 1
	.set _ZN2at6native12_GLOBAL__N_140fractional_max_pool3d_backward_out_frameIN3c104HalfEEEvN5torch10headeronly6detail27GenericPackedTensorAccessorINS7_14TensorAccessorINS3_8ArrayRefIlEET_Lm4ENS6_16DefaultPtrTraitsElEENS_6detail16IndexBoundsCheckILm5ElEESC_Lm5ESD_lEENS8_INS9_ISB_KSC_Lm4ESD_lEESH_SJ_Lm5ESD_lEENS8_INS9_ISB_KlLm4ESD_lEESH_SM_Lm5ESD_lEE.uses_flat_scratch, 0
	.set _ZN2at6native12_GLOBAL__N_140fractional_max_pool3d_backward_out_frameIN3c104HalfEEEvN5torch10headeronly6detail27GenericPackedTensorAccessorINS7_14TensorAccessorINS3_8ArrayRefIlEET_Lm4ENS6_16DefaultPtrTraitsElEENS_6detail16IndexBoundsCheckILm5ElEESC_Lm5ESD_lEENS8_INS9_ISB_KSC_Lm4ESD_lEESH_SJ_Lm5ESD_lEENS8_INS9_ISB_KlLm4ESD_lEESH_SM_Lm5ESD_lEE.has_dyn_sized_stack, 0
	.set _ZN2at6native12_GLOBAL__N_140fractional_max_pool3d_backward_out_frameIN3c104HalfEEEvN5torch10headeronly6detail27GenericPackedTensorAccessorINS7_14TensorAccessorINS3_8ArrayRefIlEET_Lm4ENS6_16DefaultPtrTraitsElEENS_6detail16IndexBoundsCheckILm5ElEESC_Lm5ESD_lEENS8_INS9_ISB_KSC_Lm4ESD_lEESH_SJ_Lm5ESD_lEENS8_INS9_ISB_KlLm4ESD_lEESH_SM_Lm5ESD_lEE.has_recursion, 0
	.set _ZN2at6native12_GLOBAL__N_140fractional_max_pool3d_backward_out_frameIN3c104HalfEEEvN5torch10headeronly6detail27GenericPackedTensorAccessorINS7_14TensorAccessorINS3_8ArrayRefIlEET_Lm4ENS6_16DefaultPtrTraitsElEENS_6detail16IndexBoundsCheckILm5ElEESC_Lm5ESD_lEENS8_INS9_ISB_KSC_Lm4ESD_lEESH_SJ_Lm5ESD_lEENS8_INS9_ISB_KlLm4ESD_lEESH_SM_Lm5ESD_lEE.has_indirect_call, 0
	.section	.AMDGPU.csdata,"",@progbits
; Kernel info:
; codeLenInByte = 5428
; TotalNumSgprs: 34
; NumVgprs: 28
; ScratchSize: 0
; MemoryBound: 0
; FloatMode: 240
; IeeeMode: 1
; LDSByteSize: 0 bytes/workgroup (compile time only)
; SGPRBlocks: 0
; VGPRBlocks: 1
; NumSGPRsForWavesPerEU: 34
; NumVGPRsForWavesPerEU: 28
; NamedBarCnt: 0
; Occupancy: 16
; WaveLimiterHint : 1
; COMPUTE_PGM_RSRC2:SCRATCH_EN: 0
; COMPUTE_PGM_RSRC2:USER_SGPR: 2
; COMPUTE_PGM_RSRC2:TRAP_HANDLER: 0
; COMPUTE_PGM_RSRC2:TGID_X_EN: 1
; COMPUTE_PGM_RSRC2:TGID_Y_EN: 1
; COMPUTE_PGM_RSRC2:TGID_Z_EN: 1
; COMPUTE_PGM_RSRC2:TIDIG_COMP_CNT: 0
	.section	.text._ZN2at6native12_GLOBAL__N_140fractional_max_pool3d_backward_out_frameIN3c108BFloat16EEEvN5torch10headeronly6detail27GenericPackedTensorAccessorINS7_14TensorAccessorINS3_8ArrayRefIlEET_Lm4ENS6_16DefaultPtrTraitsElEENS_6detail16IndexBoundsCheckILm5ElEESC_Lm5ESD_lEENS8_INS9_ISB_KSC_Lm4ESD_lEESH_SJ_Lm5ESD_lEENS8_INS9_ISB_KlLm4ESD_lEESH_SM_Lm5ESD_lEE,"axG",@progbits,_ZN2at6native12_GLOBAL__N_140fractional_max_pool3d_backward_out_frameIN3c108BFloat16EEEvN5torch10headeronly6detail27GenericPackedTensorAccessorINS7_14TensorAccessorINS3_8ArrayRefIlEET_Lm4ENS6_16DefaultPtrTraitsElEENS_6detail16IndexBoundsCheckILm5ElEESC_Lm5ESD_lEENS8_INS9_ISB_KSC_Lm4ESD_lEESH_SJ_Lm5ESD_lEENS8_INS9_ISB_KlLm4ESD_lEESH_SM_Lm5ESD_lEE,comdat
	.globl	_ZN2at6native12_GLOBAL__N_140fractional_max_pool3d_backward_out_frameIN3c108BFloat16EEEvN5torch10headeronly6detail27GenericPackedTensorAccessorINS7_14TensorAccessorINS3_8ArrayRefIlEET_Lm4ENS6_16DefaultPtrTraitsElEENS_6detail16IndexBoundsCheckILm5ElEESC_Lm5ESD_lEENS8_INS9_ISB_KSC_Lm4ESD_lEESH_SJ_Lm5ESD_lEENS8_INS9_ISB_KlLm4ESD_lEESH_SM_Lm5ESD_lEE ; -- Begin function _ZN2at6native12_GLOBAL__N_140fractional_max_pool3d_backward_out_frameIN3c108BFloat16EEEvN5torch10headeronly6detail27GenericPackedTensorAccessorINS7_14TensorAccessorINS3_8ArrayRefIlEET_Lm4ENS6_16DefaultPtrTraitsElEENS_6detail16IndexBoundsCheckILm5ElEESC_Lm5ESD_lEENS8_INS9_ISB_KSC_Lm4ESD_lEESH_SJ_Lm5ESD_lEENS8_INS9_ISB_KlLm4ESD_lEESH_SM_Lm5ESD_lEE
	.p2align	8
	.type	_ZN2at6native12_GLOBAL__N_140fractional_max_pool3d_backward_out_frameIN3c108BFloat16EEEvN5torch10headeronly6detail27GenericPackedTensorAccessorINS7_14TensorAccessorINS3_8ArrayRefIlEET_Lm4ENS6_16DefaultPtrTraitsElEENS_6detail16IndexBoundsCheckILm5ElEESC_Lm5ESD_lEENS8_INS9_ISB_KSC_Lm4ESD_lEESH_SJ_Lm5ESD_lEENS8_INS9_ISB_KlLm4ESD_lEESH_SM_Lm5ESD_lEE,@function
_ZN2at6native12_GLOBAL__N_140fractional_max_pool3d_backward_out_frameIN3c108BFloat16EEEvN5torch10headeronly6detail27GenericPackedTensorAccessorINS7_14TensorAccessorINS3_8ArrayRefIlEET_Lm4ENS6_16DefaultPtrTraitsElEENS_6detail16IndexBoundsCheckILm5ElEESC_Lm5ESD_lEENS8_INS9_ISB_KSC_Lm4ESD_lEESH_SJ_Lm5ESD_lEENS8_INS9_ISB_KlLm4ESD_lEESH_SM_Lm5ESD_lEE: ; @_ZN2at6native12_GLOBAL__N_140fractional_max_pool3d_backward_out_frameIN3c108BFloat16EEEvN5torch10headeronly6detail27GenericPackedTensorAccessorINS7_14TensorAccessorINS3_8ArrayRefIlEET_Lm4ENS6_16DefaultPtrTraitsElEENS_6detail16IndexBoundsCheckILm5ElEESC_Lm5ESD_lEENS8_INS9_ISB_KSC_Lm4ESD_lEESH_SJ_Lm5ESD_lEENS8_INS9_ISB_KlLm4ESD_lEESH_SM_Lm5ESD_lEE
; %bb.0:
	s_clause 0x2
	s_load_b32 s2, s[0:1], 0x114
	s_load_b128 s[4:7], s[0:1], 0x70
	s_load_b64 s[8:9], s[0:1], 0x80
	s_bfe_u32 s3, ttmp6, 0x4000c
	v_mov_b32_e32 v2, 0
	s_add_co_i32 s11, s3, 1
	s_and_b32 s10, ttmp6, 15
	s_mul_i32 s11, ttmp9, s11
	s_getreg_b32 s3, hwreg(HW_REG_IB_STS2, 6, 4)
	v_mov_b32_e32 v1, v2
	s_add_co_i32 s10, s10, s11
	s_wait_kmcnt 0x0
	s_and_b32 s2, s2, 0xffff
	s_cmp_eq_u32 s3, 0
	s_cselect_b32 s10, ttmp9, s10
	s_delay_alu instid0(SALU_CYCLE_1)
	v_mad_nc_u64_u32 v[4:5], s2, s10, v[0:1]
	s_mul_u64 s[10:11], s[8:9], s[6:7]
	s_mov_b32 s2, exec_lo
	s_mul_u64 s[4:5], s[10:11], s[4:5]
	s_delay_alu instid0(VALU_DEP_1) | instid1(SALU_CYCLE_1)
	v_cmpx_gt_i64_e64 s[4:5], v[4:5]
	s_cbranch_execz .LBB3_35
; %bb.1:
	v_or_b32_e32 v3, s9, v5
                                        ; implicit-def: $vgpr6_vgpr7
	s_mov_b32 s2, exec_lo
	s_delay_alu instid0(VALU_DEP_1)
	v_cmpx_ne_u64_e32 0, v[2:3]
	s_xor_b32 s14, exec_lo, s2
	s_cbranch_execz .LBB3_3
; %bb.2:
	s_ashr_i32 s4, s9, 31
	s_mov_b32 s23, 0
	s_mov_b32 s5, s4
	v_dual_mov_b32 v7, 0 :: v_dual_ashrrev_i32 v0, 31, v5
	s_add_nc_u64 s[12:13], s[8:9], s[4:5]
	s_delay_alu instid0(SALU_CYCLE_1) | instskip(NEXT) | instid1(VALU_DEP_1)
	s_xor_b64 s[12:13], s[12:13], s[4:5]
	v_mov_b32_e32 v1, v0
	s_cvt_f32_u32 s2, s12
	s_cvt_f32_u32 s5, s13
	s_sub_nc_u64 s[18:19], 0, s[12:13]
	v_dual_mov_b32 v9, v7 :: v_dual_mov_b32 v15, v7
	s_delay_alu instid0(SALU_CYCLE_1) | instskip(SKIP_1) | instid1(SALU_CYCLE_2)
	s_fmamk_f32 s2, s5, 0x4f800000, s2
	v_add_nc_u64_e32 v[2:3], v[4:5], v[0:1]
	v_s_rcp_f32 s2, s2
	s_delay_alu instid0(VALU_DEP_1) | instskip(NEXT) | instid1(VALU_DEP_2)
	v_xor_b32_e32 v6, v2, v0
	v_xor_b32_e32 v8, v3, v0
	;; [unrolled: 1-line block ×3, first 2 shown]
	s_delay_alu instid0(TRANS32_DEP_1) | instskip(NEXT) | instid1(SALU_CYCLE_3)
	s_mul_f32 s2, s2, 0x5f7ffffc
	s_mul_f32 s5, s2, 0x2f800000
	s_delay_alu instid0(SALU_CYCLE_3) | instskip(NEXT) | instid1(SALU_CYCLE_3)
	s_trunc_f32 s5, s5
	s_fmamk_f32 s2, s5, 0xcf800000, s2
	s_cvt_u32_f32 s17, s5
	s_delay_alu instid0(SALU_CYCLE_2) | instskip(NEXT) | instid1(SALU_CYCLE_3)
	s_cvt_u32_f32 s16, s2
	s_mul_u64 s[20:21], s[18:19], s[16:17]
	s_delay_alu instid0(SALU_CYCLE_1)
	s_mul_hi_u32 s25, s16, s21
	s_mul_i32 s24, s16, s21
	s_mul_hi_u32 s22, s16, s20
	s_mul_i32 s5, s17, s20
	s_add_nc_u64 s[24:25], s[22:23], s[24:25]
	s_mul_hi_u32 s2, s17, s20
	s_mul_hi_u32 s15, s17, s21
	s_add_co_u32 s5, s24, s5
	s_add_co_ci_u32 s22, s25, s2
	s_mul_i32 s20, s17, s21
	s_add_co_ci_u32 s21, s15, 0
	s_delay_alu instid0(SALU_CYCLE_1) | instskip(NEXT) | instid1(SALU_CYCLE_1)
	s_add_nc_u64 s[20:21], s[22:23], s[20:21]
	s_add_co_u32 s16, s16, s20
	s_cselect_b32 s2, -1, 0
	s_delay_alu instid0(SALU_CYCLE_1) | instskip(SKIP_1) | instid1(SALU_CYCLE_1)
	s_cmp_lg_u32 s2, 0
	s_add_co_ci_u32 s17, s17, s21
	s_mul_u64 s[18:19], s[18:19], s[16:17]
	s_delay_alu instid0(SALU_CYCLE_1)
	s_mul_hi_u32 s21, s16, s19
	s_mul_i32 s20, s16, s19
	s_mul_hi_u32 s22, s16, s18
	s_mul_i32 s5, s17, s18
	s_add_nc_u64 s[20:21], s[22:23], s[20:21]
	s_mul_hi_u32 s2, s17, s18
	s_mul_hi_u32 s15, s17, s19
	s_add_co_u32 s5, s20, s5
	s_add_co_ci_u32 s22, s21, s2
	s_mul_i32 s18, s17, s19
	s_add_co_ci_u32 s19, s15, 0
	s_delay_alu instid0(SALU_CYCLE_1) | instskip(NEXT) | instid1(SALU_CYCLE_1)
	s_add_nc_u64 s[18:19], s[22:23], s[18:19]
	s_add_co_u32 s2, s16, s18
	s_cselect_b32 s5, -1, 0
	v_mul_hi_u32 v14, v6, s2
	s_cmp_lg_u32 s5, 0
	s_add_co_ci_u32 s22, s17, s19
	s_mov_b64 s[16:17], 0xffffffff
	v_mul_u64_e32 v[10:11], s[22:23], v[6:7]
	s_and_b64 s[16:17], s[2:3], s[16:17]
	v_mul_u64_e32 v[12:13], s[22:23], v[8:9]
	v_mul_u64_e32 v[2:3], s[16:17], v[8:9]
	s_delay_alu instid0(VALU_DEP_3) | instskip(NEXT) | instid1(VALU_DEP_1)
	v_add_nc_u64_e32 v[10:11], v[14:15], v[10:11]
	v_add_co_u32 v1, vcc_lo, v10, v2
	s_delay_alu instid0(VALU_DEP_2) | instskip(SKIP_1) | instid1(VALU_DEP_1)
	v_add_co_ci_u32_e32 v14, vcc_lo, v11, v3, vcc_lo
	v_add_co_ci_u32_e32 v13, vcc_lo, 0, v13, vcc_lo
	v_add_nc_u64_e32 v[2:3], v[14:15], v[12:13]
	s_delay_alu instid0(VALU_DEP_1) | instskip(NEXT) | instid1(VALU_DEP_1)
	v_mul_u64_e32 v[10:11], s[12:13], v[2:3]
	v_sub_nc_u32_e32 v1, v8, v11
	s_delay_alu instid0(VALU_DEP_2) | instskip(NEXT) | instid1(VALU_DEP_1)
	v_sub_co_u32 v6, vcc_lo, v6, v10
	v_sub_co_ci_u32_e64 v10, null, v8, v11, vcc_lo
	s_delay_alu instid0(VALU_DEP_3) | instskip(NEXT) | instid1(VALU_DEP_3)
	v_subrev_co_ci_u32_e64 v1, null, s13, v1, vcc_lo
	v_sub_co_u32 v7, s2, v6, s12
	s_delay_alu instid0(VALU_DEP_1) | instskip(NEXT) | instid1(VALU_DEP_2)
	v_subrev_co_ci_u32_e64 v1, null, 0, v1, s2
	v_cmp_le_u32_e32 vcc_lo, s12, v7
	v_cndmask_b32_e64 v7, 0, -1, vcc_lo
	s_delay_alu instid0(VALU_DEP_3)
	v_cmp_le_u32_e32 vcc_lo, s13, v1
	v_cndmask_b32_e64 v8, 0, -1, vcc_lo
	v_cmp_le_u32_e32 vcc_lo, s12, v6
	v_cndmask_b32_e64 v11, 0, -1, vcc_lo
	;; [unrolled: 2-line block ×3, first 2 shown]
	v_cmp_eq_u32_e32 vcc_lo, s13, v1
	v_cndmask_b32_e32 v1, v8, v7, vcc_lo
	v_cmp_eq_u32_e32 vcc_lo, s13, v10
	v_add_nc_u64_e32 v[6:7], 2, v[2:3]
	v_add_nc_u64_e32 v[8:9], 1, v[2:3]
	v_cndmask_b32_e32 v10, v12, v11, vcc_lo
	v_cmp_ne_u32_e32 vcc_lo, 0, v1
	s_delay_alu instid0(VALU_DEP_2) | instskip(NEXT) | instid1(VALU_DEP_4)
	v_cmp_ne_u32_e64 s2, 0, v10
	v_dual_cndmask_b32 v6, v8, v6 :: v_dual_cndmask_b32 v1, v9, v7
	s_delay_alu instid0(VALU_DEP_1) | instskip(NEXT) | instid1(VALU_DEP_1)
	v_dual_cndmask_b32 v2, v2, v6, s2 :: v_dual_cndmask_b32 v3, v3, v1, s2
	v_dual_mov_b32 v1, v0 :: v_dual_bitop2_b32 v2, v2, v0 bitop3:0x14
	s_delay_alu instid0(VALU_DEP_2) | instskip(NEXT) | instid1(VALU_DEP_1)
	v_xor_b32_e32 v3, v3, v0
	v_sub_nc_u64_e32 v[6:7], v[2:3], v[0:1]
.LBB3_3:
	s_and_not1_saveexec_b32 s2, s14
	s_cbranch_execz .LBB3_5
; %bb.4:
	v_cvt_f32_u32_e32 v0, s8
	s_sub_co_i32 s4, 0, s8
	v_mov_b32_e32 v7, 0
	s_delay_alu instid0(VALU_DEP_2) | instskip(SKIP_1) | instid1(TRANS32_DEP_1)
	v_rcp_iflag_f32_e32 v0, v0
	v_nop
	v_mul_f32_e32 v0, 0x4f7ffffe, v0
	s_delay_alu instid0(VALU_DEP_1) | instskip(NEXT) | instid1(VALU_DEP_1)
	v_cvt_u32_f32_e32 v0, v0
	v_mul_lo_u32 v1, s4, v0
	s_delay_alu instid0(VALU_DEP_1) | instskip(NEXT) | instid1(VALU_DEP_1)
	v_mul_hi_u32 v1, v0, v1
	v_add_nc_u32_e32 v0, v0, v1
	s_delay_alu instid0(VALU_DEP_1) | instskip(NEXT) | instid1(VALU_DEP_1)
	v_mul_hi_u32 v0, v4, v0
	v_mul_lo_u32 v1, v0, s8
	s_delay_alu instid0(VALU_DEP_1) | instskip(NEXT) | instid1(VALU_DEP_1)
	v_dual_add_nc_u32 v2, 1, v0 :: v_dual_sub_nc_u32 v1, v4, v1
	v_subrev_nc_u32_e32 v3, s8, v1
	v_cmp_le_u32_e32 vcc_lo, s8, v1
	s_delay_alu instid0(VALU_DEP_2) | instskip(NEXT) | instid1(VALU_DEP_1)
	v_dual_cndmask_b32 v1, v1, v3 :: v_dual_cndmask_b32 v0, v0, v2
	v_cmp_le_u32_e32 vcc_lo, s8, v1
	s_delay_alu instid0(VALU_DEP_2) | instskip(NEXT) | instid1(VALU_DEP_1)
	v_add_nc_u32_e32 v2, 1, v0
	v_cndmask_b32_e32 v6, v0, v2, vcc_lo
.LBB3_5:
	s_or_b32 exec_lo, exec_lo, s2
	s_delay_alu instid0(VALU_DEP_1) | instskip(SKIP_1) | instid1(VALU_DEP_1)
	v_dual_mov_b32 v2, 0 :: v_dual_bitop2_b32 v3, s7, v7 bitop3:0x54
                                        ; implicit-def: $vgpr0_vgpr1
	s_mov_b32 s2, exec_lo
	v_cmpx_ne_u64_e32 0, v[2:3]
	s_xor_b32 s12, exec_lo, s2
	s_cbranch_execz .LBB3_7
; %bb.6:
	s_ashr_i32 s4, s7, 31
	s_mov_b32 s21, 0
	s_mov_b32 s5, s4
	v_dual_mov_b32 v11, v2 :: v_dual_ashrrev_i32 v0, 31, v7
	s_add_nc_u64 s[14:15], s[6:7], s[4:5]
	v_mov_b32_e32 v13, v2
	s_xor_b64 s[4:5], s[14:15], s[4:5]
	s_delay_alu instid0(VALU_DEP_2)
	v_mov_b32_e32 v1, v0
	s_cvt_f32_u32 s2, s4
	s_cvt_f32_u32 s7, s5
	s_sub_nc_u64 s[16:17], 0, s[4:5]
	v_mov_b32_e32 v19, v2
	v_add_nc_u64_e32 v[8:9], v[6:7], v[0:1]
	s_fmamk_f32 s2, s7, 0x4f800000, s2
	v_mov_b32_e32 v3, v2
	s_delay_alu instid0(SALU_CYCLE_2) | instskip(NEXT) | instid1(VALU_DEP_2)
	v_s_rcp_f32 s2, s2
	v_xor_b32_e32 v10, v8, v0
	s_delay_alu instid0(VALU_DEP_3) | instskip(NEXT) | instid1(TRANS32_DEP_1)
	v_xor_b32_e32 v12, v9, v0
	s_mul_f32 s2, s2, 0x5f7ffffc
	s_delay_alu instid0(SALU_CYCLE_3) | instskip(NEXT) | instid1(SALU_CYCLE_3)
	s_mul_f32 s7, s2, 0x2f800000
	s_trunc_f32 s7, s7
	s_delay_alu instid0(SALU_CYCLE_3) | instskip(SKIP_1) | instid1(SALU_CYCLE_2)
	s_fmamk_f32 s2, s7, 0xcf800000, s2
	s_cvt_u32_f32 s15, s7
	s_cvt_u32_f32 s14, s2
	s_delay_alu instid0(SALU_CYCLE_3) | instskip(NEXT) | instid1(SALU_CYCLE_1)
	s_mul_u64 s[18:19], s[16:17], s[14:15]
	s_mul_hi_u32 s23, s14, s19
	s_mul_i32 s22, s14, s19
	s_mul_hi_u32 s20, s14, s18
	s_mul_i32 s7, s15, s18
	s_add_nc_u64 s[22:23], s[20:21], s[22:23]
	s_mul_hi_u32 s2, s15, s18
	s_mul_hi_u32 s13, s15, s19
	s_add_co_u32 s7, s22, s7
	s_add_co_ci_u32 s20, s23, s2
	s_mul_i32 s18, s15, s19
	s_add_co_ci_u32 s19, s13, 0
	s_delay_alu instid0(SALU_CYCLE_1) | instskip(NEXT) | instid1(SALU_CYCLE_1)
	s_add_nc_u64 s[18:19], s[20:21], s[18:19]
	s_add_co_u32 s14, s14, s18
	s_cselect_b32 s2, -1, 0
	s_delay_alu instid0(SALU_CYCLE_1) | instskip(SKIP_1) | instid1(SALU_CYCLE_1)
	s_cmp_lg_u32 s2, 0
	s_add_co_ci_u32 s15, s15, s19
	s_mul_u64 s[16:17], s[16:17], s[14:15]
	s_delay_alu instid0(SALU_CYCLE_1)
	s_mul_hi_u32 s19, s14, s17
	s_mul_i32 s18, s14, s17
	s_mul_hi_u32 s20, s14, s16
	s_mul_i32 s7, s15, s16
	s_add_nc_u64 s[18:19], s[20:21], s[18:19]
	s_mul_hi_u32 s2, s15, s16
	s_mul_hi_u32 s13, s15, s17
	s_add_co_u32 s7, s18, s7
	s_add_co_ci_u32 s20, s19, s2
	s_mul_i32 s16, s15, s17
	s_add_co_ci_u32 s17, s13, 0
	s_delay_alu instid0(SALU_CYCLE_1) | instskip(NEXT) | instid1(SALU_CYCLE_1)
	s_add_nc_u64 s[16:17], s[20:21], s[16:17]
	s_add_co_u32 s2, s14, s16
	s_cselect_b32 s7, -1, 0
	v_mul_hi_u32 v18, v10, s2
	s_cmp_lg_u32 s7, 0
	s_add_co_ci_u32 s20, s15, s17
	s_mov_b64 s[14:15], 0xffffffff
	v_mul_u64_e32 v[14:15], s[20:21], v[10:11]
	s_and_b64 s[14:15], s[2:3], s[14:15]
	v_mul_u64_e32 v[16:17], s[20:21], v[12:13]
	v_mul_u64_e32 v[8:9], s[14:15], v[12:13]
	s_delay_alu instid0(VALU_DEP_3) | instskip(NEXT) | instid1(VALU_DEP_1)
	v_add_nc_u64_e32 v[14:15], v[18:19], v[14:15]
	v_add_co_u32 v2, vcc_lo, v14, v8
	s_delay_alu instid0(VALU_DEP_2) | instskip(SKIP_1) | instid1(VALU_DEP_1)
	v_add_co_ci_u32_e32 v2, vcc_lo, v15, v9, vcc_lo
	v_add_co_ci_u32_e32 v17, vcc_lo, 0, v17, vcc_lo
	v_add_nc_u64_e32 v[2:3], v[2:3], v[16:17]
	s_delay_alu instid0(VALU_DEP_1) | instskip(NEXT) | instid1(VALU_DEP_1)
	v_mul_u64_e32 v[2:3], s[4:5], v[2:3]
	v_sub_nc_u32_e32 v8, v12, v3
	s_delay_alu instid0(VALU_DEP_2) | instskip(NEXT) | instid1(VALU_DEP_1)
	v_sub_co_u32 v2, vcc_lo, v10, v2
	v_sub_co_ci_u32_e64 v3, null, v12, v3, vcc_lo
	s_delay_alu instid0(VALU_DEP_3) | instskip(NEXT) | instid1(VALU_DEP_3)
	v_subrev_co_ci_u32_e64 v8, null, s5, v8, vcc_lo
	v_sub_co_u32 v9, vcc_lo, v2, s4
	v_cmp_le_u32_e64 s2, s4, v2
	s_delay_alu instid0(VALU_DEP_3) | instskip(SKIP_1) | instid1(VALU_DEP_3)
	v_subrev_co_ci_u32_e64 v10, null, 0, v8, vcc_lo
	v_subrev_co_ci_u32_e64 v8, null, s5, v8, vcc_lo
	v_cndmask_b32_e64 v11, 0, -1, s2
	v_cmp_le_u32_e64 s2, s4, v9
	v_cmp_le_u32_e32 vcc_lo, s5, v3
	s_delay_alu instid0(VALU_DEP_2) | instskip(SKIP_3) | instid1(VALU_DEP_3)
	v_cndmask_b32_e64 v12, 0, -1, s2
	v_cmp_le_u32_e64 s2, s5, v10
	v_cndmask_b32_e64 v14, 0, -1, vcc_lo
	v_cmp_eq_u32_e32 vcc_lo, s5, v10
	v_cndmask_b32_e64 v13, 0, -1, s2
	v_cmp_eq_u32_e64 s2, s5, v3
	s_delay_alu instid0(VALU_DEP_2) | instskip(SKIP_1) | instid1(VALU_DEP_1)
	v_cndmask_b32_e32 v12, v13, v12, vcc_lo
	v_sub_co_u32 v13, vcc_lo, v9, s4
	v_subrev_co_ci_u32_e64 v8, null, 0, v8, vcc_lo
	s_delay_alu instid0(VALU_DEP_3) | instskip(NEXT) | instid1(VALU_DEP_3)
	v_cmp_ne_u32_e32 vcc_lo, 0, v12
	v_dual_cndmask_b32 v11, v14, v11, s2 :: v_dual_cndmask_b32 v9, v9, v13, vcc_lo
	s_delay_alu instid0(VALU_DEP_3) | instskip(NEXT) | instid1(VALU_DEP_2)
	v_cndmask_b32_e32 v8, v10, v8, vcc_lo
	v_cmp_ne_u32_e32 vcc_lo, 0, v11
	s_delay_alu instid0(VALU_DEP_2) | instskip(NEXT) | instid1(VALU_DEP_1)
	v_dual_cndmask_b32 v3, v3, v8 :: v_dual_cndmask_b32 v2, v2, v9
	v_xor_b32_e32 v3, v3, v0
	s_delay_alu instid0(VALU_DEP_2) | instskip(NEXT) | instid1(VALU_DEP_1)
	v_xor_b32_e32 v2, v2, v0
	v_sub_nc_u64_e32 v[0:1], v[2:3], v[0:1]
.LBB3_7:
	s_and_not1_saveexec_b32 s2, s12
	s_cbranch_execz .LBB3_9
; %bb.8:
	v_cvt_f32_u32_e32 v0, s6
	s_sub_co_i32 s4, 0, s6
	s_delay_alu instid0(VALU_DEP_1) | instskip(SKIP_1) | instid1(TRANS32_DEP_1)
	v_rcp_iflag_f32_e32 v0, v0
	v_nop
	v_mul_f32_e32 v0, 0x4f7ffffe, v0
	s_delay_alu instid0(VALU_DEP_1) | instskip(NEXT) | instid1(VALU_DEP_1)
	v_cvt_u32_f32_e32 v0, v0
	v_mul_lo_u32 v1, s4, v0
	s_delay_alu instid0(VALU_DEP_1) | instskip(NEXT) | instid1(VALU_DEP_1)
	v_mul_hi_u32 v1, v0, v1
	v_add_nc_u32_e32 v0, v0, v1
	s_delay_alu instid0(VALU_DEP_1) | instskip(NEXT) | instid1(VALU_DEP_1)
	v_mul_hi_u32 v0, v6, v0
	v_mul_lo_u32 v0, v0, s6
	s_delay_alu instid0(VALU_DEP_1) | instskip(NEXT) | instid1(VALU_DEP_1)
	v_sub_nc_u32_e32 v0, v6, v0
	v_subrev_nc_u32_e32 v1, s6, v0
	v_cmp_le_u32_e32 vcc_lo, s6, v0
	s_delay_alu instid0(VALU_DEP_2) | instskip(NEXT) | instid1(VALU_DEP_1)
	v_cndmask_b32_e32 v0, v0, v1, vcc_lo
	v_subrev_nc_u32_e32 v1, s6, v0
	v_cmp_le_u32_e32 vcc_lo, s6, v0
	s_delay_alu instid0(VALU_DEP_2)
	v_dual_cndmask_b32 v0, v0, v1 :: v_dual_mov_b32 v1, 0
.LBB3_9:
	s_or_b32 exec_lo, exec_lo, s2
	v_dual_mov_b32 v8, 0 :: v_dual_bitop2_b32 v9, s11, v5 bitop3:0x54
                                        ; implicit-def: $vgpr2_vgpr3
	s_mov_b32 s2, exec_lo
	s_delay_alu instid0(VALU_DEP_1)
	v_cmpx_ne_u64_e32 0, v[8:9]
	s_xor_b32 s12, exec_lo, s2
	s_cbranch_execz .LBB3_11
; %bb.10:
	s_ashr_i32 s4, s11, 31
	s_mov_b32 s21, 0
	s_mov_b32 s5, s4
	v_dual_mov_b32 v13, v8 :: v_dual_ashrrev_i32 v2, 31, v5
	s_add_nc_u64 s[6:7], s[10:11], s[4:5]
	v_mov_b32_e32 v15, v8
	s_xor_b64 s[6:7], s[6:7], s[4:5]
	s_delay_alu instid0(VALU_DEP_2)
	v_mov_b32_e32 v3, v2
	s_cvt_f32_u32 s2, s6
	s_cvt_f32_u32 s5, s7
	s_sub_nc_u64 s[16:17], 0, s[6:7]
	v_mov_b32_e32 v21, v8
	v_add_nc_u64_e32 v[10:11], v[4:5], v[2:3]
	s_fmamk_f32 s2, s5, 0x4f800000, s2
	v_mov_b32_e32 v9, v8
	s_delay_alu instid0(SALU_CYCLE_2) | instskip(NEXT) | instid1(VALU_DEP_2)
	v_s_rcp_f32 s2, s2
	v_xor_b32_e32 v12, v10, v2
	s_delay_alu instid0(VALU_DEP_3) | instskip(SKIP_1) | instid1(TRANS32_DEP_1)
	v_xor_b32_e32 v14, v11, v2
	v_xor_b32_e32 v2, s4, v2
	s_mul_f32 s2, s2, 0x5f7ffffc
	s_delay_alu instid0(SALU_CYCLE_3) | instskip(NEXT) | instid1(SALU_CYCLE_3)
	s_mul_f32 s5, s2, 0x2f800000
	s_trunc_f32 s5, s5
	s_delay_alu instid0(SALU_CYCLE_3) | instskip(SKIP_1) | instid1(SALU_CYCLE_2)
	s_fmamk_f32 s2, s5, 0xcf800000, s2
	s_cvt_u32_f32 s15, s5
	s_cvt_u32_f32 s14, s2
	s_delay_alu instid0(SALU_CYCLE_3) | instskip(NEXT) | instid1(SALU_CYCLE_1)
	s_mul_u64 s[18:19], s[16:17], s[14:15]
	s_mul_hi_u32 s23, s14, s19
	s_mul_i32 s22, s14, s19
	s_mul_hi_u32 s20, s14, s18
	s_mul_i32 s5, s15, s18
	s_add_nc_u64 s[22:23], s[20:21], s[22:23]
	s_mul_hi_u32 s2, s15, s18
	s_mul_hi_u32 s11, s15, s19
	s_add_co_u32 s5, s22, s5
	s_add_co_ci_u32 s20, s23, s2
	s_mul_i32 s18, s15, s19
	s_add_co_ci_u32 s19, s11, 0
	s_delay_alu instid0(SALU_CYCLE_1) | instskip(NEXT) | instid1(SALU_CYCLE_1)
	s_add_nc_u64 s[18:19], s[20:21], s[18:19]
	s_add_co_u32 s14, s14, s18
	s_cselect_b32 s2, -1, 0
	s_delay_alu instid0(SALU_CYCLE_1) | instskip(SKIP_1) | instid1(SALU_CYCLE_1)
	s_cmp_lg_u32 s2, 0
	s_add_co_ci_u32 s15, s15, s19
	s_mul_u64 s[16:17], s[16:17], s[14:15]
	s_delay_alu instid0(SALU_CYCLE_1)
	s_mul_hi_u32 s19, s14, s17
	s_mul_i32 s18, s14, s17
	s_mul_hi_u32 s20, s14, s16
	s_mul_i32 s5, s15, s16
	s_add_nc_u64 s[18:19], s[20:21], s[18:19]
	s_mul_hi_u32 s2, s15, s16
	s_mul_hi_u32 s11, s15, s17
	s_add_co_u32 s5, s18, s5
	s_add_co_ci_u32 s20, s19, s2
	s_mul_i32 s16, s15, s17
	s_add_co_ci_u32 s17, s11, 0
	s_delay_alu instid0(SALU_CYCLE_1) | instskip(NEXT) | instid1(SALU_CYCLE_1)
	s_add_nc_u64 s[16:17], s[20:21], s[16:17]
	s_add_co_u32 s2, s14, s16
	s_cselect_b32 s5, -1, 0
	v_mul_hi_u32 v20, v12, s2
	s_cmp_lg_u32 s5, 0
	s_add_co_ci_u32 s20, s15, s17
	s_mov_b64 s[14:15], 0xffffffff
	v_mul_u64_e32 v[16:17], s[20:21], v[12:13]
	s_and_b64 s[14:15], s[2:3], s[14:15]
	v_mul_u64_e32 v[18:19], s[20:21], v[14:15]
	v_mul_u64_e32 v[10:11], s[14:15], v[14:15]
	s_delay_alu instid0(VALU_DEP_3) | instskip(NEXT) | instid1(VALU_DEP_1)
	v_add_nc_u64_e32 v[16:17], v[20:21], v[16:17]
	v_add_co_u32 v3, vcc_lo, v16, v10
	s_delay_alu instid0(VALU_DEP_2) | instskip(SKIP_1) | instid1(VALU_DEP_1)
	v_add_co_ci_u32_e32 v8, vcc_lo, v17, v11, vcc_lo
	v_add_co_ci_u32_e32 v19, vcc_lo, 0, v19, vcc_lo
	v_add_nc_u64_e32 v[8:9], v[8:9], v[18:19]
	s_delay_alu instid0(VALU_DEP_1) | instskip(NEXT) | instid1(VALU_DEP_1)
	v_mul_u64_e32 v[10:11], s[6:7], v[8:9]
	v_sub_nc_u32_e32 v3, v14, v11
	s_delay_alu instid0(VALU_DEP_2) | instskip(NEXT) | instid1(VALU_DEP_1)
	v_sub_co_u32 v10, vcc_lo, v12, v10
	v_sub_co_ci_u32_e64 v14, null, v14, v11, vcc_lo
	s_delay_alu instid0(VALU_DEP_3) | instskip(NEXT) | instid1(VALU_DEP_3)
	v_subrev_co_ci_u32_e64 v3, null, s7, v3, vcc_lo
	v_sub_co_u32 v12, s2, v10, s6
	s_delay_alu instid0(VALU_DEP_1) | instskip(NEXT) | instid1(VALU_DEP_2)
	v_subrev_co_ci_u32_e64 v3, null, 0, v3, s2
	v_cmp_le_u32_e32 vcc_lo, s6, v12
	v_cndmask_b32_e64 v11, 0, -1, vcc_lo
	s_delay_alu instid0(VALU_DEP_3)
	v_cmp_le_u32_e32 vcc_lo, s7, v3
	v_cndmask_b32_e64 v12, 0, -1, vcc_lo
	v_cmp_le_u32_e32 vcc_lo, s6, v10
	v_cndmask_b32_e64 v15, 0, -1, vcc_lo
	;; [unrolled: 2-line block ×3, first 2 shown]
	v_cmp_eq_u32_e32 vcc_lo, s7, v3
	v_cndmask_b32_e32 v3, v12, v11, vcc_lo
	v_cmp_eq_u32_e32 vcc_lo, s7, v14
	v_add_nc_u64_e32 v[10:11], 2, v[8:9]
	v_add_nc_u64_e32 v[12:13], 1, v[8:9]
	v_cndmask_b32_e32 v14, v16, v15, vcc_lo
	v_cmp_ne_u32_e32 vcc_lo, 0, v3
	s_delay_alu instid0(VALU_DEP_2) | instskip(NEXT) | instid1(VALU_DEP_4)
	v_cmp_ne_u32_e64 s2, 0, v14
	v_dual_cndmask_b32 v10, v12, v10 :: v_dual_cndmask_b32 v3, v13, v11
	s_delay_alu instid0(VALU_DEP_1) | instskip(NEXT) | instid1(VALU_DEP_1)
	v_dual_cndmask_b32 v8, v8, v10, s2 :: v_dual_cndmask_b32 v9, v9, v3, s2
	v_dual_mov_b32 v3, v2 :: v_dual_bitop2_b32 v8, v8, v2 bitop3:0x14
	s_delay_alu instid0(VALU_DEP_2) | instskip(NEXT) | instid1(VALU_DEP_1)
	v_xor_b32_e32 v9, v9, v2
	v_sub_nc_u64_e32 v[2:3], v[8:9], v[2:3]
.LBB3_11:
	s_and_not1_saveexec_b32 s2, s12
	s_cbranch_execz .LBB3_13
; %bb.12:
	v_cvt_f32_u32_e32 v2, s10
	s_sub_co_i32 s4, 0, s10
	s_delay_alu instid0(VALU_DEP_1) | instskip(SKIP_1) | instid1(TRANS32_DEP_1)
	v_rcp_iflag_f32_e32 v2, v2
	v_nop
	v_mul_f32_e32 v2, 0x4f7ffffe, v2
	s_delay_alu instid0(VALU_DEP_1) | instskip(NEXT) | instid1(VALU_DEP_1)
	v_cvt_u32_f32_e32 v2, v2
	v_mul_lo_u32 v3, s4, v2
	s_delay_alu instid0(VALU_DEP_1) | instskip(NEXT) | instid1(VALU_DEP_1)
	v_mul_hi_u32 v3, v2, v3
	v_add_nc_u32_e32 v2, v2, v3
	s_delay_alu instid0(VALU_DEP_1) | instskip(NEXT) | instid1(VALU_DEP_1)
	v_mul_hi_u32 v2, v4, v2
	v_mul_lo_u32 v3, v2, s10
	s_delay_alu instid0(VALU_DEP_1) | instskip(NEXT) | instid1(VALU_DEP_1)
	v_dual_add_nc_u32 v8, 1, v2 :: v_dual_sub_nc_u32 v3, v4, v3
	v_subrev_nc_u32_e32 v9, s10, v3
	v_cmp_le_u32_e32 vcc_lo, s10, v3
	s_delay_alu instid0(VALU_DEP_2) | instskip(NEXT) | instid1(VALU_DEP_1)
	v_dual_cndmask_b32 v3, v3, v9 :: v_dual_cndmask_b32 v2, v2, v8
	v_cmp_le_u32_e32 vcc_lo, s10, v3
	s_delay_alu instid0(VALU_DEP_2) | instskip(NEXT) | instid1(VALU_DEP_1)
	v_dual_mov_b32 v3, 0 :: v_dual_add_nc_u32 v8, 1, v2
	v_cndmask_b32_e32 v2, v2, v8, vcc_lo
.LBB3_13:
	s_or_b32 exec_lo, exec_lo, s2
	v_mul_u64_e32 v[6:7], s[8:9], v[6:7]
	s_clause 0x1
	s_load_b256 s[4:11], s[0:1], 0xe0
	s_load_b64 s[12:13], s[0:1], 0x100
	s_lshr_b32 s2, ttmp7, 16
	s_bfe_u32 s14, ttmp6, 0x40004
	s_mov_b32 s17, 0
	s_delay_alu instid0(SALU_CYCLE_1) | instskip(SKIP_3) | instid1(VALU_DEP_2)
	s_mov_b32 s19, s17
	s_wait_kmcnt 0x0
	v_mul_u64_e32 v[8:9], s[8:9], v[2:3]
	s_bfe_u32 s8, ttmp6, 0x40014
	v_sub_nc_u64_e32 v[4:5], v[4:5], v[6:7]
	v_mul_u64_e32 v[6:7], s[10:11], v[0:1]
	s_add_co_i32 s10, s8, 1
	s_load_b64 s[8:9], s[0:1], 0xb0
	s_bfe_u32 s11, ttmp6, 0x40010
	s_mul_i32 s10, s2, s10
	s_add_co_i32 s11, s11, 1
	v_mul_u64_e32 v[10:11], s[12:13], v[4:5]
	s_and_b32 s12, ttmp7, 0xffff
	s_bfe_u32 s13, ttmp6, 0x40008
	s_mul_i32 s11, s12, s11
	s_add_co_i32 s13, s13, s10
	s_add_co_i32 s14, s14, s11
	s_cmp_eq_u32 s3, 0
	s_cselect_b32 s18, s2, s13
	s_cselect_b32 s16, s12, s14
	s_mul_u64 s[2:3], s[4:5], s[18:19]
	s_mul_u64 s[4:5], s[6:7], s[16:17]
	s_lshl_b64 s[2:3], s[2:3], 3
	s_lshl_b64 s[4:5], s[4:5], 3
	s_wait_kmcnt 0x0
	s_add_nc_u64 s[2:3], s[8:9], s[2:3]
	s_delay_alu instid0(SALU_CYCLE_1)
	s_add_nc_u64 s[2:3], s[2:3], s[4:5]
	s_delay_alu instid0(VALU_DEP_4) | instid1(SALU_CYCLE_1)
	v_lshl_add_u64 v[8:9], v[8:9], 3, s[2:3]
	s_mov_b32 s2, exec_lo
	s_delay_alu instid0(VALU_DEP_1) | instskip(NEXT) | instid1(VALU_DEP_1)
	v_lshl_add_u64 v[6:7], v[6:7], 3, v[8:9]
	v_lshl_add_u64 v[6:7], v[10:11], 3, v[6:7]
	global_load_b64 v[6:7], v[6:7], off
	s_wait_loadcnt 0x0
	v_cmpx_lt_i64_e32 -1, v[6:7]
	s_xor_b32 s3, exec_lo, s2
	s_cbranch_execz .LBB3_32
; %bb.14:
	s_load_b128 s[4:7], s[0:1], 0x20
                                        ; implicit-def: $vgpr8_vgpr9
	s_mov_b32 s2, exec_lo
	v_mov_b32_e32 v10, 0
	s_wait_kmcnt 0x0
	s_mul_u64 s[8:9], s[4:5], s[6:7]
	s_delay_alu instid0(SALU_CYCLE_1) | instskip(NEXT) | instid1(VALU_DEP_1)
	v_or_b32_e32 v11, s9, v7
	v_cmpx_ne_u64_e32 0, v[10:11]
	s_xor_b32 s14, exec_lo, s2
	s_cbranch_execz .LBB3_16
; %bb.15:
	s_ashr_i32 s10, s9, 31
	s_mov_b32 s27, 0
	s_mov_b32 s11, s10
	v_dual_mov_b32 v15, v10 :: v_dual_ashrrev_i32 v8, 31, v7
	s_add_nc_u64 s[12:13], s[8:9], s[10:11]
	v_mov_b32_e32 v17, v10
	s_xor_b64 s[12:13], s[12:13], s[10:11]
	s_delay_alu instid0(VALU_DEP_2)
	v_mov_b32_e32 v9, v8
	s_cvt_f32_u32 s2, s12
	s_cvt_f32_u32 s9, s13
	s_sub_nc_u64 s[22:23], 0, s[12:13]
	v_mov_b32_e32 v23, v10
	v_add_nc_u64_e32 v[12:13], v[6:7], v[8:9]
	s_fmamk_f32 s2, s9, 0x4f800000, s2
	v_mov_b32_e32 v11, v10
	s_delay_alu instid0(SALU_CYCLE_2) | instskip(NEXT) | instid1(VALU_DEP_2)
	v_s_rcp_f32 s2, s2
	v_xor_b32_e32 v14, v12, v8
	s_delay_alu instid0(VALU_DEP_3) | instskip(SKIP_1) | instid1(TRANS32_DEP_1)
	v_xor_b32_e32 v16, v13, v8
	v_xor_b32_e32 v8, s10, v8
	s_mul_f32 s2, s2, 0x5f7ffffc
	s_delay_alu instid0(SALU_CYCLE_3) | instskip(NEXT) | instid1(SALU_CYCLE_3)
	s_mul_f32 s9, s2, 0x2f800000
	s_trunc_f32 s9, s9
	s_delay_alu instid0(SALU_CYCLE_3) | instskip(SKIP_1) | instid1(SALU_CYCLE_2)
	s_fmamk_f32 s2, s9, 0xcf800000, s2
	s_cvt_u32_f32 s21, s9
	s_cvt_u32_f32 s20, s2
	s_delay_alu instid0(SALU_CYCLE_3) | instskip(NEXT) | instid1(SALU_CYCLE_1)
	s_mul_u64 s[24:25], s[22:23], s[20:21]
	s_mul_hi_u32 s29, s20, s25
	s_mul_i32 s28, s20, s25
	s_mul_hi_u32 s26, s20, s24
	s_mul_i32 s9, s21, s24
	s_add_nc_u64 s[28:29], s[26:27], s[28:29]
	s_mul_hi_u32 s2, s21, s24
	s_mul_hi_u32 s11, s21, s25
	s_add_co_u32 s9, s28, s9
	s_add_co_ci_u32 s26, s29, s2
	s_mul_i32 s24, s21, s25
	s_add_co_ci_u32 s25, s11, 0
	s_delay_alu instid0(SALU_CYCLE_1) | instskip(NEXT) | instid1(SALU_CYCLE_1)
	s_add_nc_u64 s[24:25], s[26:27], s[24:25]
	s_add_co_u32 s20, s20, s24
	s_cselect_b32 s2, -1, 0
	s_delay_alu instid0(SALU_CYCLE_1) | instskip(SKIP_1) | instid1(SALU_CYCLE_1)
	s_cmp_lg_u32 s2, 0
	s_add_co_ci_u32 s21, s21, s25
	s_mul_u64 s[22:23], s[22:23], s[20:21]
	s_delay_alu instid0(SALU_CYCLE_1)
	s_mul_hi_u32 s25, s20, s23
	s_mul_i32 s24, s20, s23
	s_mul_hi_u32 s26, s20, s22
	s_mul_i32 s9, s21, s22
	s_add_nc_u64 s[24:25], s[26:27], s[24:25]
	s_mul_hi_u32 s2, s21, s22
	s_mul_hi_u32 s11, s21, s23
	s_add_co_u32 s9, s24, s9
	s_add_co_ci_u32 s26, s25, s2
	s_mul_i32 s22, s21, s23
	s_add_co_ci_u32 s23, s11, 0
	s_delay_alu instid0(SALU_CYCLE_1) | instskip(NEXT) | instid1(SALU_CYCLE_1)
	s_add_nc_u64 s[22:23], s[26:27], s[22:23]
	s_add_co_u32 s2, s20, s22
	s_cselect_b32 s9, -1, 0
	v_mul_hi_u32 v22, v14, s2
	s_cmp_lg_u32 s9, 0
	s_add_co_ci_u32 s26, s21, s23
	s_mov_b64 s[20:21], 0xffffffff
	v_mul_u64_e32 v[18:19], s[26:27], v[14:15]
	s_and_b64 s[20:21], s[2:3], s[20:21]
	v_mul_u64_e32 v[20:21], s[26:27], v[16:17]
	v_mul_u64_e32 v[12:13], s[20:21], v[16:17]
	s_delay_alu instid0(VALU_DEP_3) | instskip(NEXT) | instid1(VALU_DEP_1)
	v_add_nc_u64_e32 v[18:19], v[22:23], v[18:19]
	v_add_co_u32 v9, vcc_lo, v18, v12
	s_delay_alu instid0(VALU_DEP_2) | instskip(SKIP_1) | instid1(VALU_DEP_1)
	v_add_co_ci_u32_e32 v10, vcc_lo, v19, v13, vcc_lo
	v_add_co_ci_u32_e32 v21, vcc_lo, 0, v21, vcc_lo
	v_add_nc_u64_e32 v[10:11], v[10:11], v[20:21]
	s_delay_alu instid0(VALU_DEP_1) | instskip(NEXT) | instid1(VALU_DEP_1)
	v_mul_u64_e32 v[12:13], s[12:13], v[10:11]
	v_sub_nc_u32_e32 v9, v16, v13
	s_delay_alu instid0(VALU_DEP_2) | instskip(NEXT) | instid1(VALU_DEP_1)
	v_sub_co_u32 v12, vcc_lo, v14, v12
	v_sub_co_ci_u32_e64 v16, null, v16, v13, vcc_lo
	s_delay_alu instid0(VALU_DEP_3) | instskip(NEXT) | instid1(VALU_DEP_3)
	v_subrev_co_ci_u32_e64 v9, null, s13, v9, vcc_lo
	v_sub_co_u32 v14, s2, v12, s12
	s_delay_alu instid0(VALU_DEP_1) | instskip(NEXT) | instid1(VALU_DEP_2)
	v_subrev_co_ci_u32_e64 v9, null, 0, v9, s2
	v_cmp_le_u32_e32 vcc_lo, s12, v14
	v_cndmask_b32_e64 v13, 0, -1, vcc_lo
	s_delay_alu instid0(VALU_DEP_3)
	v_cmp_le_u32_e32 vcc_lo, s13, v9
	v_cndmask_b32_e64 v14, 0, -1, vcc_lo
	v_cmp_le_u32_e32 vcc_lo, s12, v12
	v_cndmask_b32_e64 v17, 0, -1, vcc_lo
	;; [unrolled: 2-line block ×3, first 2 shown]
	v_cmp_eq_u32_e32 vcc_lo, s13, v9
	v_cndmask_b32_e32 v9, v14, v13, vcc_lo
	v_cmp_eq_u32_e32 vcc_lo, s13, v16
	v_add_nc_u64_e32 v[12:13], 2, v[10:11]
	v_add_nc_u64_e32 v[14:15], 1, v[10:11]
	v_cndmask_b32_e32 v16, v18, v17, vcc_lo
	v_cmp_ne_u32_e32 vcc_lo, 0, v9
	s_delay_alu instid0(VALU_DEP_2) | instskip(NEXT) | instid1(VALU_DEP_4)
	v_cmp_ne_u32_e64 s2, 0, v16
	v_dual_cndmask_b32 v12, v14, v12 :: v_dual_cndmask_b32 v9, v15, v13
	s_delay_alu instid0(VALU_DEP_1) | instskip(NEXT) | instid1(VALU_DEP_1)
	v_dual_cndmask_b32 v10, v10, v12, s2 :: v_dual_cndmask_b32 v11, v11, v9, s2
	v_dual_mov_b32 v9, v8 :: v_dual_bitop2_b32 v10, v10, v8 bitop3:0x14
	s_delay_alu instid0(VALU_DEP_2) | instskip(NEXT) | instid1(VALU_DEP_1)
	v_xor_b32_e32 v11, v11, v8
	v_sub_nc_u64_e32 v[8:9], v[10:11], v[8:9]
.LBB3_16:
	s_and_not1_saveexec_b32 s2, s14
	s_cbranch_execz .LBB3_18
; %bb.17:
	v_cvt_f32_u32_e32 v8, s8
	s_sub_co_i32 s9, 0, s8
	s_delay_alu instid0(VALU_DEP_1) | instskip(SKIP_1) | instid1(TRANS32_DEP_1)
	v_rcp_iflag_f32_e32 v8, v8
	v_nop
	v_mul_f32_e32 v8, 0x4f7ffffe, v8
	s_delay_alu instid0(VALU_DEP_1) | instskip(NEXT) | instid1(VALU_DEP_1)
	v_cvt_u32_f32_e32 v8, v8
	v_mul_lo_u32 v9, s9, v8
	s_delay_alu instid0(VALU_DEP_1) | instskip(NEXT) | instid1(VALU_DEP_1)
	v_mul_hi_u32 v9, v8, v9
	v_add_nc_u32_e32 v8, v8, v9
	s_delay_alu instid0(VALU_DEP_1) | instskip(NEXT) | instid1(VALU_DEP_1)
	v_mul_hi_u32 v8, v6, v8
	v_mul_lo_u32 v9, v8, s8
	s_delay_alu instid0(VALU_DEP_1) | instskip(NEXT) | instid1(VALU_DEP_1)
	v_dual_add_nc_u32 v10, 1, v8 :: v_dual_sub_nc_u32 v9, v6, v9
	v_subrev_nc_u32_e32 v11, s8, v9
	v_cmp_le_u32_e32 vcc_lo, s8, v9
	s_delay_alu instid0(VALU_DEP_2) | instskip(NEXT) | instid1(VALU_DEP_1)
	v_dual_cndmask_b32 v9, v9, v11 :: v_dual_cndmask_b32 v8, v8, v10
	v_cmp_le_u32_e32 vcc_lo, s8, v9
	s_delay_alu instid0(VALU_DEP_2) | instskip(NEXT) | instid1(VALU_DEP_1)
	v_dual_mov_b32 v9, 0 :: v_dual_add_nc_u32 v10, 1, v8
	v_cndmask_b32_e32 v8, v8, v10, vcc_lo
.LBB3_18:
	s_or_b32 exec_lo, exec_lo, s2
	s_load_b64 s[8:9], s[0:1], 0x18
	s_mov_b32 s20, 0
	s_mov_b32 s2, exec_lo
	s_wait_kmcnt 0x0
	v_cmpx_le_i64_e64 s[8:9], v[8:9]
	s_xor_b32 s2, exec_lo, s2
	s_cbranch_execnz .LBB3_37
; %bb.19:
	s_and_not1_saveexec_b32 s21, s2
	s_cbranch_execz .LBB3_31
.LBB3_20:
	v_dual_mov_b32 v12, 0 :: v_dual_bitop2_b32 v13, s7, v7 bitop3:0x54
                                        ; implicit-def: $vgpr10_vgpr11
	s_mov_b32 s2, exec_lo
	s_delay_alu instid0(VALU_DEP_1)
	v_cmpx_ne_u64_e32 0, v[12:13]
	s_xor_b32 s12, exec_lo, s2
	s_cbranch_execz .LBB3_22
; %bb.21:
	s_ashr_i32 s8, s7, 31
	s_mov_b32 s27, 0
	s_mov_b32 s9, s8
	v_dual_mov_b32 v17, v12 :: v_dual_ashrrev_i32 v10, 31, v7
	s_add_nc_u64 s[10:11], s[6:7], s[8:9]
	v_mov_b32_e32 v19, v12
	s_xor_b64 s[10:11], s[10:11], s[8:9]
	s_delay_alu instid0(VALU_DEP_2)
	v_mov_b32_e32 v11, v10
	s_cvt_f32_u32 s2, s10
	s_cvt_f32_u32 s9, s11
	s_sub_nc_u64 s[22:23], 0, s[10:11]
	v_mov_b32_e32 v25, v12
	v_add_nc_u64_e32 v[14:15], v[6:7], v[10:11]
	s_fmamk_f32 s2, s9, 0x4f800000, s2
	v_mov_b32_e32 v13, v12
	s_delay_alu instid0(SALU_CYCLE_2) | instskip(NEXT) | instid1(VALU_DEP_2)
	v_s_rcp_f32 s2, s2
	v_xor_b32_e32 v16, v14, v10
	s_delay_alu instid0(VALU_DEP_3) | instskip(SKIP_1) | instid1(TRANS32_DEP_1)
	v_xor_b32_e32 v18, v15, v10
	v_xor_b32_e32 v10, s8, v10
	s_mul_f32 s2, s2, 0x5f7ffffc
	s_delay_alu instid0(SALU_CYCLE_3) | instskip(NEXT) | instid1(SALU_CYCLE_3)
	s_mul_f32 s9, s2, 0x2f800000
	s_trunc_f32 s9, s9
	s_delay_alu instid0(SALU_CYCLE_3) | instskip(SKIP_1) | instid1(SALU_CYCLE_2)
	s_fmamk_f32 s2, s9, 0xcf800000, s2
	s_cvt_u32_f32 s15, s9
	s_cvt_u32_f32 s14, s2
	s_delay_alu instid0(SALU_CYCLE_3) | instskip(NEXT) | instid1(SALU_CYCLE_1)
	s_mul_u64 s[24:25], s[22:23], s[14:15]
	s_mul_hi_u32 s29, s14, s25
	s_mul_i32 s28, s14, s25
	s_mul_hi_u32 s26, s14, s24
	s_mul_i32 s9, s15, s24
	s_add_nc_u64 s[28:29], s[26:27], s[28:29]
	s_mul_hi_u32 s2, s15, s24
	s_mul_hi_u32 s13, s15, s25
	s_add_co_u32 s9, s28, s9
	s_add_co_ci_u32 s26, s29, s2
	s_mul_i32 s24, s15, s25
	s_add_co_ci_u32 s25, s13, 0
	s_delay_alu instid0(SALU_CYCLE_1) | instskip(NEXT) | instid1(SALU_CYCLE_1)
	s_add_nc_u64 s[24:25], s[26:27], s[24:25]
	s_add_co_u32 s14, s14, s24
	s_cselect_b32 s2, -1, 0
	s_delay_alu instid0(SALU_CYCLE_1) | instskip(SKIP_1) | instid1(SALU_CYCLE_1)
	s_cmp_lg_u32 s2, 0
	s_add_co_ci_u32 s15, s15, s25
	s_mul_u64 s[22:23], s[22:23], s[14:15]
	s_delay_alu instid0(SALU_CYCLE_1)
	s_mul_hi_u32 s25, s14, s23
	s_mul_i32 s24, s14, s23
	s_mul_hi_u32 s26, s14, s22
	s_mul_i32 s9, s15, s22
	s_add_nc_u64 s[24:25], s[26:27], s[24:25]
	s_mul_hi_u32 s2, s15, s22
	s_mul_hi_u32 s13, s15, s23
	s_add_co_u32 s9, s24, s9
	s_add_co_ci_u32 s26, s25, s2
	s_mul_i32 s22, s15, s23
	s_add_co_ci_u32 s23, s13, 0
	s_delay_alu instid0(SALU_CYCLE_1) | instskip(NEXT) | instid1(SALU_CYCLE_1)
	s_add_nc_u64 s[22:23], s[26:27], s[22:23]
	s_add_co_u32 s2, s14, s22
	s_cselect_b32 s9, -1, 0
	v_mul_hi_u32 v24, v16, s2
	s_cmp_lg_u32 s9, 0
	s_add_co_ci_u32 s26, s15, s23
	s_mov_b64 s[14:15], 0xffffffff
	v_mul_u64_e32 v[20:21], s[26:27], v[16:17]
	s_and_b64 s[14:15], s[2:3], s[14:15]
	v_mul_u64_e32 v[22:23], s[26:27], v[18:19]
	v_mul_u64_e32 v[14:15], s[14:15], v[18:19]
	s_delay_alu instid0(VALU_DEP_3) | instskip(NEXT) | instid1(VALU_DEP_1)
	v_add_nc_u64_e32 v[20:21], v[24:25], v[20:21]
	v_add_co_u32 v11, vcc_lo, v20, v14
	s_delay_alu instid0(VALU_DEP_2) | instskip(SKIP_1) | instid1(VALU_DEP_1)
	v_add_co_ci_u32_e32 v12, vcc_lo, v21, v15, vcc_lo
	v_add_co_ci_u32_e32 v23, vcc_lo, 0, v23, vcc_lo
	v_add_nc_u64_e32 v[12:13], v[12:13], v[22:23]
	s_delay_alu instid0(VALU_DEP_1) | instskip(NEXT) | instid1(VALU_DEP_1)
	v_mul_u64_e32 v[14:15], s[10:11], v[12:13]
	v_sub_nc_u32_e32 v11, v18, v15
	s_delay_alu instid0(VALU_DEP_2) | instskip(NEXT) | instid1(VALU_DEP_1)
	v_sub_co_u32 v14, vcc_lo, v16, v14
	v_sub_co_ci_u32_e64 v18, null, v18, v15, vcc_lo
	s_delay_alu instid0(VALU_DEP_3) | instskip(NEXT) | instid1(VALU_DEP_3)
	v_subrev_co_ci_u32_e64 v11, null, s11, v11, vcc_lo
	v_sub_co_u32 v16, s2, v14, s10
	s_delay_alu instid0(VALU_DEP_1) | instskip(NEXT) | instid1(VALU_DEP_2)
	v_subrev_co_ci_u32_e64 v11, null, 0, v11, s2
	v_cmp_le_u32_e32 vcc_lo, s10, v16
	v_cndmask_b32_e64 v15, 0, -1, vcc_lo
	s_delay_alu instid0(VALU_DEP_3)
	v_cmp_le_u32_e32 vcc_lo, s11, v11
	v_cndmask_b32_e64 v16, 0, -1, vcc_lo
	v_cmp_le_u32_e32 vcc_lo, s10, v14
	v_cndmask_b32_e64 v19, 0, -1, vcc_lo
	;; [unrolled: 2-line block ×3, first 2 shown]
	v_cmp_eq_u32_e32 vcc_lo, s11, v11
	v_cndmask_b32_e32 v11, v16, v15, vcc_lo
	v_cmp_eq_u32_e32 vcc_lo, s11, v18
	v_add_nc_u64_e32 v[14:15], 2, v[12:13]
	v_add_nc_u64_e32 v[16:17], 1, v[12:13]
	v_cndmask_b32_e32 v18, v20, v19, vcc_lo
	v_cmp_ne_u32_e32 vcc_lo, 0, v11
	s_delay_alu instid0(VALU_DEP_2) | instskip(NEXT) | instid1(VALU_DEP_4)
	v_cmp_ne_u32_e64 s2, 0, v18
	v_dual_cndmask_b32 v14, v16, v14 :: v_dual_cndmask_b32 v11, v17, v15
	s_delay_alu instid0(VALU_DEP_1) | instskip(NEXT) | instid1(VALU_DEP_1)
	v_dual_cndmask_b32 v12, v12, v14, s2 :: v_dual_cndmask_b32 v13, v13, v11, s2
	v_dual_mov_b32 v11, v10 :: v_dual_bitop2_b32 v12, v12, v10 bitop3:0x14
	s_delay_alu instid0(VALU_DEP_2) | instskip(NEXT) | instid1(VALU_DEP_1)
	v_xor_b32_e32 v13, v13, v10
	v_sub_nc_u64_e32 v[10:11], v[12:13], v[10:11]
.LBB3_22:
	s_and_not1_saveexec_b32 s2, s12
	s_cbranch_execz .LBB3_24
; %bb.23:
	v_cvt_f32_u32_e32 v10, s6
	s_sub_co_i32 s8, 0, s6
	s_delay_alu instid0(VALU_DEP_1) | instskip(SKIP_1) | instid1(TRANS32_DEP_1)
	v_rcp_iflag_f32_e32 v10, v10
	v_nop
	v_mul_f32_e32 v10, 0x4f7ffffe, v10
	s_delay_alu instid0(VALU_DEP_1) | instskip(NEXT) | instid1(VALU_DEP_1)
	v_cvt_u32_f32_e32 v10, v10
	v_mul_lo_u32 v11, s8, v10
	s_delay_alu instid0(VALU_DEP_1) | instskip(NEXT) | instid1(VALU_DEP_1)
	v_mul_hi_u32 v11, v10, v11
	v_add_nc_u32_e32 v10, v10, v11
	s_delay_alu instid0(VALU_DEP_1) | instskip(NEXT) | instid1(VALU_DEP_1)
	v_mul_hi_u32 v10, v6, v10
	v_mul_lo_u32 v11, v10, s6
	s_delay_alu instid0(VALU_DEP_1) | instskip(NEXT) | instid1(VALU_DEP_1)
	v_dual_add_nc_u32 v12, 1, v10 :: v_dual_sub_nc_u32 v11, v6, v11
	v_subrev_nc_u32_e32 v13, s6, v11
	v_cmp_le_u32_e32 vcc_lo, s6, v11
	s_delay_alu instid0(VALU_DEP_2) | instskip(NEXT) | instid1(VALU_DEP_1)
	v_dual_cndmask_b32 v11, v11, v13 :: v_dual_cndmask_b32 v10, v10, v12
	v_cmp_le_u32_e32 vcc_lo, s6, v11
	s_delay_alu instid0(VALU_DEP_2) | instskip(NEXT) | instid1(VALU_DEP_1)
	v_dual_mov_b32 v11, 0 :: v_dual_add_nc_u32 v12, 1, v10
	v_cndmask_b32_e32 v10, v10, v12, vcc_lo
.LBB3_24:
	s_or_b32 exec_lo, exec_lo, s2
	s_delay_alu instid0(VALU_DEP_1) | instskip(SKIP_1) | instid1(VALU_DEP_1)
	v_dual_mov_b32 v12, 0 :: v_dual_bitop2_b32 v13, s5, v11 bitop3:0x54
                                        ; implicit-def: $vgpr14_vgpr15
	s_mov_b32 s2, exec_lo
	v_cmpx_ne_u64_e32 0, v[12:13]
	s_xor_b32 s10, exec_lo, s2
	s_cbranch_execz .LBB3_26
; %bb.25:
	s_ashr_i32 s8, s5, 31
	s_mov_b32 s25, 0
	s_mov_b32 s9, s8
	v_dual_mov_b32 v19, v12 :: v_dual_ashrrev_i32 v14, 31, v11
	s_add_nc_u64 s[12:13], s[4:5], s[8:9]
	v_dual_mov_b32 v27, v12 :: v_dual_mov_b32 v13, v12
	s_xor_b64 s[8:9], s[12:13], s[8:9]
	s_delay_alu instid0(VALU_DEP_2) | instskip(SKIP_3) | instid1(VALU_DEP_1)
	v_mov_b32_e32 v15, v14
	s_cvt_f32_u32 s2, s8
	s_cvt_f32_u32 s5, s9
	s_sub_nc_u64 s[14:15], 0, s[8:9]
	v_add_nc_u64_e32 v[16:17], v[10:11], v[14:15]
	s_delay_alu instid0(SALU_CYCLE_1) | instskip(SKIP_1) | instid1(SALU_CYCLE_2)
	s_fmamk_f32 s2, s5, 0x4f800000, s2
	v_mov_b32_e32 v21, v12
	v_s_rcp_f32 s2, s2
	s_delay_alu instid0(VALU_DEP_2) | instskip(NEXT) | instid1(VALU_DEP_3)
	v_xor_b32_e32 v18, v16, v14
	v_xor_b32_e32 v20, v17, v14
	s_delay_alu instid0(TRANS32_DEP_1) | instskip(NEXT) | instid1(SALU_CYCLE_3)
	s_mul_f32 s2, s2, 0x5f7ffffc
	s_mul_f32 s5, s2, 0x2f800000
	s_delay_alu instid0(SALU_CYCLE_3) | instskip(NEXT) | instid1(SALU_CYCLE_3)
	s_trunc_f32 s5, s5
	s_fmamk_f32 s2, s5, 0xcf800000, s2
	s_cvt_u32_f32 s13, s5
	s_delay_alu instid0(SALU_CYCLE_2) | instskip(NEXT) | instid1(SALU_CYCLE_3)
	s_cvt_u32_f32 s12, s2
	s_mul_u64 s[22:23], s[14:15], s[12:13]
	s_delay_alu instid0(SALU_CYCLE_1)
	s_mul_hi_u32 s27, s12, s23
	s_mul_i32 s26, s12, s23
	s_mul_hi_u32 s24, s12, s22
	s_mul_i32 s5, s13, s22
	s_add_nc_u64 s[26:27], s[24:25], s[26:27]
	s_mul_hi_u32 s2, s13, s22
	s_mul_hi_u32 s11, s13, s23
	s_add_co_u32 s5, s26, s5
	s_add_co_ci_u32 s24, s27, s2
	s_mul_i32 s22, s13, s23
	s_add_co_ci_u32 s23, s11, 0
	s_delay_alu instid0(SALU_CYCLE_1) | instskip(NEXT) | instid1(SALU_CYCLE_1)
	s_add_nc_u64 s[22:23], s[24:25], s[22:23]
	s_add_co_u32 s12, s12, s22
	s_cselect_b32 s2, -1, 0
	s_delay_alu instid0(SALU_CYCLE_1) | instskip(SKIP_1) | instid1(SALU_CYCLE_1)
	s_cmp_lg_u32 s2, 0
	s_add_co_ci_u32 s13, s13, s23
	s_mul_u64 s[14:15], s[14:15], s[12:13]
	s_delay_alu instid0(SALU_CYCLE_1)
	s_mul_hi_u32 s23, s12, s15
	s_mul_i32 s22, s12, s15
	s_mul_hi_u32 s24, s12, s14
	s_mul_i32 s5, s13, s14
	s_add_nc_u64 s[22:23], s[24:25], s[22:23]
	s_mul_hi_u32 s2, s13, s14
	s_mul_hi_u32 s11, s13, s15
	s_add_co_u32 s5, s22, s5
	s_add_co_ci_u32 s24, s23, s2
	s_mul_i32 s14, s13, s15
	s_add_co_ci_u32 s15, s11, 0
	s_delay_alu instid0(SALU_CYCLE_1) | instskip(NEXT) | instid1(SALU_CYCLE_1)
	s_add_nc_u64 s[14:15], s[24:25], s[14:15]
	s_add_co_u32 s2, s12, s14
	s_cselect_b32 s5, -1, 0
	v_mul_hi_u32 v26, v18, s2
	s_cmp_lg_u32 s5, 0
	s_add_co_ci_u32 s24, s13, s15
	s_mov_b64 s[12:13], 0xffffffff
	v_mul_u64_e32 v[22:23], s[24:25], v[18:19]
	s_and_b64 s[12:13], s[2:3], s[12:13]
	v_mul_u64_e32 v[24:25], s[24:25], v[20:21]
	v_mul_u64_e32 v[16:17], s[12:13], v[20:21]
	s_delay_alu instid0(VALU_DEP_3) | instskip(NEXT) | instid1(VALU_DEP_1)
	v_add_nc_u64_e32 v[22:23], v[26:27], v[22:23]
	v_add_co_u32 v12, vcc_lo, v22, v16
	s_delay_alu instid0(VALU_DEP_2) | instskip(SKIP_1) | instid1(VALU_DEP_1)
	v_add_co_ci_u32_e32 v12, vcc_lo, v23, v17, vcc_lo
	v_add_co_ci_u32_e32 v25, vcc_lo, 0, v25, vcc_lo
	v_add_nc_u64_e32 v[12:13], v[12:13], v[24:25]
	s_delay_alu instid0(VALU_DEP_1) | instskip(NEXT) | instid1(VALU_DEP_1)
	v_mul_u64_e32 v[12:13], s[8:9], v[12:13]
	v_sub_nc_u32_e32 v16, v20, v13
	s_delay_alu instid0(VALU_DEP_2) | instskip(NEXT) | instid1(VALU_DEP_1)
	v_sub_co_u32 v12, vcc_lo, v18, v12
	v_sub_co_ci_u32_e64 v13, null, v20, v13, vcc_lo
	s_delay_alu instid0(VALU_DEP_3) | instskip(NEXT) | instid1(VALU_DEP_3)
	v_subrev_co_ci_u32_e64 v16, null, s9, v16, vcc_lo
	v_sub_co_u32 v17, vcc_lo, v12, s8
	v_cmp_le_u32_e64 s2, s8, v12
	s_delay_alu instid0(VALU_DEP_3) | instskip(SKIP_1) | instid1(VALU_DEP_3)
	v_subrev_co_ci_u32_e64 v18, null, 0, v16, vcc_lo
	v_subrev_co_ci_u32_e64 v16, null, s9, v16, vcc_lo
	v_cndmask_b32_e64 v19, 0, -1, s2
	v_cmp_le_u32_e64 s2, s8, v17
	v_cmp_le_u32_e32 vcc_lo, s9, v13
	s_delay_alu instid0(VALU_DEP_2) | instskip(SKIP_3) | instid1(VALU_DEP_3)
	v_cndmask_b32_e64 v20, 0, -1, s2
	v_cmp_le_u32_e64 s2, s9, v18
	v_cndmask_b32_e64 v22, 0, -1, vcc_lo
	v_cmp_eq_u32_e32 vcc_lo, s9, v18
	v_cndmask_b32_e64 v21, 0, -1, s2
	v_cmp_eq_u32_e64 s2, s9, v13
	s_delay_alu instid0(VALU_DEP_2) | instskip(SKIP_1) | instid1(VALU_DEP_1)
	v_cndmask_b32_e32 v20, v21, v20, vcc_lo
	v_sub_co_u32 v21, vcc_lo, v17, s8
	v_subrev_co_ci_u32_e64 v16, null, 0, v16, vcc_lo
	s_delay_alu instid0(VALU_DEP_3) | instskip(NEXT) | instid1(VALU_DEP_3)
	v_cmp_ne_u32_e32 vcc_lo, 0, v20
	v_dual_cndmask_b32 v19, v22, v19, s2 :: v_dual_cndmask_b32 v17, v17, v21, vcc_lo
	s_delay_alu instid0(VALU_DEP_3) | instskip(NEXT) | instid1(VALU_DEP_2)
	v_cndmask_b32_e32 v16, v18, v16, vcc_lo
	v_cmp_ne_u32_e32 vcc_lo, 0, v19
	s_delay_alu instid0(VALU_DEP_2) | instskip(NEXT) | instid1(VALU_DEP_1)
	v_dual_cndmask_b32 v12, v12, v17 :: v_dual_cndmask_b32 v13, v13, v16
	v_xor_b32_e32 v12, v12, v14
	s_delay_alu instid0(VALU_DEP_2) | instskip(NEXT) | instid1(VALU_DEP_1)
	v_xor_b32_e32 v13, v13, v14
	v_sub_nc_u64_e32 v[14:15], v[12:13], v[14:15]
.LBB3_26:
	s_and_not1_saveexec_b32 s2, s10
	s_cbranch_execz .LBB3_28
; %bb.27:
	v_cvt_f32_u32_e32 v12, s4
	s_sub_co_i32 s5, 0, s4
	v_mov_b32_e32 v15, 0
	s_delay_alu instid0(VALU_DEP_2) | instskip(SKIP_1) | instid1(TRANS32_DEP_1)
	v_rcp_iflag_f32_e32 v12, v12
	v_nop
	v_mul_f32_e32 v12, 0x4f7ffffe, v12
	s_delay_alu instid0(VALU_DEP_1) | instskip(NEXT) | instid1(VALU_DEP_1)
	v_cvt_u32_f32_e32 v12, v12
	v_mul_lo_u32 v13, s5, v12
	s_delay_alu instid0(VALU_DEP_1) | instskip(NEXT) | instid1(VALU_DEP_1)
	v_mul_hi_u32 v13, v12, v13
	v_add_nc_u32_e32 v12, v12, v13
	s_delay_alu instid0(VALU_DEP_1) | instskip(NEXT) | instid1(VALU_DEP_1)
	v_mul_hi_u32 v12, v10, v12
	v_mul_lo_u32 v12, v12, s4
	s_delay_alu instid0(VALU_DEP_1) | instskip(NEXT) | instid1(VALU_DEP_1)
	v_sub_nc_u32_e32 v12, v10, v12
	v_subrev_nc_u32_e32 v13, s4, v12
	v_cmp_le_u32_e32 vcc_lo, s4, v12
	s_delay_alu instid0(VALU_DEP_2) | instskip(NEXT) | instid1(VALU_DEP_1)
	v_cndmask_b32_e32 v12, v12, v13, vcc_lo
	v_subrev_nc_u32_e32 v13, s4, v12
	v_cmp_le_u32_e32 vcc_lo, s4, v12
	s_delay_alu instid0(VALU_DEP_2)
	v_cndmask_b32_e32 v14, v12, v13, vcc_lo
.LBB3_28:
	s_or_b32 exec_lo, exec_lo, s2
	v_mul_u64_e32 v[10:11], s[6:7], v[10:11]
	s_clause 0x2
	s_load_b256 s[4:11], s[0:1], 0x30
	s_load_b128 s[12:15], s[0:1], 0x50
	s_load_b256 s[24:31], s[0:1], 0x88
	s_wait_kmcnt 0x0
	v_mul_u64_e32 v[8:9], s[8:9], v[8:9]
	s_load_b64 s[8:9], s[0:1], 0xa8
	v_mul_u64_e32 v[2:3], s[28:29], v[2:3]
	s_wait_xcnt 0x0
	s_load_b64 s[0:1], s[0:1], 0x0
	v_mul_u64_e32 v[0:1], s[30:31], v[0:1]
	s_mul_u64 s[4:5], s[4:5], s[18:19]
	s_mul_u64 s[6:7], s[6:7], s[16:17]
	s_lshl_b64 s[4:5], s[4:5], 1
	s_lshl_b64 s[6:7], s[6:7], 1
	s_delay_alu instid0(VALU_DEP_4) | instskip(SKIP_1) | instid1(VALU_DEP_2)
	v_sub_nc_u64_e32 v[6:7], v[6:7], v[10:11]
	v_mul_u64_e32 v[10:11], s[10:11], v[14:15]
	v_mul_u64_e32 v[6:7], s[12:13], v[6:7]
	s_wait_kmcnt 0x0
	v_mul_u64_e32 v[4:5], s[8:9], v[4:5]
	s_add_nc_u64 s[0:1], s[0:1], s[4:5]
	s_mul_u64 s[4:5], s[26:27], s[16:17]
	s_add_nc_u64 s[0:1], s[0:1], s[6:7]
	s_lshl_b64 s[4:5], s[4:5], 1
	v_lshl_add_u64 v[8:9], v[8:9], 1, s[0:1]
	s_mul_u64 s[0:1], s[24:25], s[18:19]
	s_delay_alu instid0(SALU_CYCLE_1) | instskip(NEXT) | instid1(SALU_CYCLE_1)
	s_lshl_b64 s[0:1], s[0:1], 1
	s_add_nc_u64 s[0:1], s[14:15], s[0:1]
	s_delay_alu instid0(SALU_CYCLE_1) | instskip(NEXT) | instid1(SALU_CYCLE_1)
	s_add_nc_u64 s[0:1], s[0:1], s[4:5]
	v_lshl_add_u64 v[2:3], v[2:3], 1, s[0:1]
	s_mov_b32 s1, 0
	s_delay_alu instid0(VALU_DEP_1) | instskip(SKIP_1) | instid1(VALU_DEP_1)
	v_lshl_add_u64 v[0:1], v[0:1], 1, v[2:3]
	v_lshl_add_u64 v[8:9], v[10:11], 1, v[8:9]
	;; [unrolled: 1-line block ×3, first 2 shown]
	s_delay_alu instid0(VALU_DEP_3) | instskip(NEXT) | instid1(VALU_DEP_2)
	v_lshl_add_u64 v[4:5], v[4:5], 1, v[0:1]
	v_dual_mov_b32 v9, 0 :: v_dual_bitop2_b32 v8, 2, v6 bitop3:0x40
	s_delay_alu instid0(VALU_DEP_1) | instskip(SKIP_1) | instid1(VALU_DEP_2)
	v_sub_nc_u64_e32 v[2:3], 0, v[8:9]
	v_cmp_eq_u64_e32 vcc_lo, 0, v[8:9]
	v_add_nc_u64_e32 v[0:1], v[6:7], v[2:3]
	global_load_u16 v2, v[4:5], off
	global_load_b32 v3, v[0:1], off
	s_wait_loadcnt 0x1
	s_wait_xcnt 0x1
	v_lshlrev_b32_e32 v4, 16, v2
.LBB3_29:                               ; =>This Inner Loop Header: Depth=1
	s_wait_loadcnt 0x0
	v_lshrrev_b32_e32 v2, 16, v3
	v_and_b32_e32 v5, 0xffff, v3
	s_delay_alu instid0(VALU_DEP_1) | instskip(NEXT) | instid1(VALU_DEP_1)
	v_cndmask_b32_e32 v2, v2, v5, vcc_lo
	v_lshlrev_b32_e32 v2, 16, v2
	s_delay_alu instid0(VALU_DEP_1) | instskip(NEXT) | instid1(VALU_DEP_1)
	v_add_f32_e32 v2, v4, v2
	v_bfe_u32 v6, v2, 16, 1
	v_cmp_o_f32_e64 s0, v2, v2
	s_delay_alu instid0(VALU_DEP_2) | instskip(NEXT) | instid1(VALU_DEP_1)
	v_add3_u32 v6, v2, v6, 0x7fff
	v_lshrrev_b32_e32 v6, 16, v6
	s_delay_alu instid0(VALU_DEP_1) | instskip(NEXT) | instid1(VALU_DEP_1)
	v_cndmask_b32_e64 v2, 0x7fc0, v6, s0
	v_lshl_or_b32 v5, v2, 16, v5
	v_and_or_b32 v2, 0xffff0000, v3, v2
	s_delay_alu instid0(VALU_DEP_1)
	v_cndmask_b32_e32 v2, v5, v2, vcc_lo
	global_atomic_cmpswap_b32 v2, v[0:1], v[2:3], off th:TH_ATOMIC_RETURN scope:SCOPE_DEV
	s_wait_loadcnt 0x0
	v_cmp_eq_u32_e64 s0, v3, v2
	v_mov_b32_e32 v3, v2
	s_or_b32 s1, s0, s1
	s_delay_alu instid0(SALU_CYCLE_1)
	s_and_not1_b32 exec_lo, exec_lo, s1
	s_cbranch_execnz .LBB3_29
; %bb.30:
	s_or_b32 exec_lo, exec_lo, s1
.LBB3_31:
	s_delay_alu instid0(SALU_CYCLE_1) | instskip(NEXT) | instid1(SALU_CYCLE_1)
	s_or_b32 exec_lo, exec_lo, s21
	s_and_b32 s17, s20, exec_lo
.LBB3_32:
	s_and_not1_saveexec_b32 s0, s3
	s_cbranch_execnz .LBB3_36
; %bb.33:
	s_or_b32 exec_lo, exec_lo, s0
	s_delay_alu instid0(SALU_CYCLE_1)
	s_and_b32 exec_lo, exec_lo, s17
.LBB3_34:
	; divergent unreachable
.LBB3_35:
	s_endpgm
.LBB3_36:
	s_or_b32 s17, s17, exec_lo
	s_trap 2
	s_or_b32 exec_lo, exec_lo, s0
	s_delay_alu instid0(SALU_CYCLE_1)
	s_and_b32 exec_lo, exec_lo, s17
	s_cbranch_execnz .LBB3_34
	s_branch .LBB3_35
.LBB3_37:
	s_mov_b32 s20, exec_lo
	s_trap 2
                                        ; implicit-def: $vgpr6_vgpr7
                                        ; implicit-def: $vgpr8_vgpr9
                                        ; implicit-def: $vgpr2_vgpr3
                                        ; implicit-def: $vgpr0_vgpr1
                                        ; implicit-def: $vgpr4_vgpr5
	s_and_not1_saveexec_b32 s21, s2
	s_cbranch_execnz .LBB3_20
	s_branch .LBB3_31
	.section	.rodata,"a",@progbits
	.p2align	6, 0x0
	.amdhsa_kernel _ZN2at6native12_GLOBAL__N_140fractional_max_pool3d_backward_out_frameIN3c108BFloat16EEEvN5torch10headeronly6detail27GenericPackedTensorAccessorINS7_14TensorAccessorINS3_8ArrayRefIlEET_Lm4ENS6_16DefaultPtrTraitsElEENS_6detail16IndexBoundsCheckILm5ElEESC_Lm5ESD_lEENS8_INS9_ISB_KSC_Lm4ESD_lEESH_SJ_Lm5ESD_lEENS8_INS9_ISB_KlLm4ESD_lEESH_SM_Lm5ESD_lEE
		.amdhsa_group_segment_fixed_size 0
		.amdhsa_private_segment_fixed_size 0
		.amdhsa_kernarg_size 520
		.amdhsa_user_sgpr_count 2
		.amdhsa_user_sgpr_dispatch_ptr 0
		.amdhsa_user_sgpr_queue_ptr 0
		.amdhsa_user_sgpr_kernarg_segment_ptr 1
		.amdhsa_user_sgpr_dispatch_id 0
		.amdhsa_user_sgpr_kernarg_preload_length 0
		.amdhsa_user_sgpr_kernarg_preload_offset 0
		.amdhsa_user_sgpr_private_segment_size 0
		.amdhsa_wavefront_size32 1
		.amdhsa_uses_dynamic_stack 0
		.amdhsa_enable_private_segment 0
		.amdhsa_system_sgpr_workgroup_id_x 1
		.amdhsa_system_sgpr_workgroup_id_y 1
		.amdhsa_system_sgpr_workgroup_id_z 1
		.amdhsa_system_sgpr_workgroup_info 0
		.amdhsa_system_vgpr_workitem_id 0
		.amdhsa_next_free_vgpr 28
		.amdhsa_next_free_sgpr 32
		.amdhsa_named_barrier_count 0
		.amdhsa_reserve_vcc 1
		.amdhsa_float_round_mode_32 0
		.amdhsa_float_round_mode_16_64 0
		.amdhsa_float_denorm_mode_32 3
		.amdhsa_float_denorm_mode_16_64 3
		.amdhsa_fp16_overflow 0
		.amdhsa_memory_ordered 1
		.amdhsa_forward_progress 1
		.amdhsa_inst_pref_size 43
		.amdhsa_round_robin_scheduling 0
		.amdhsa_exception_fp_ieee_invalid_op 0
		.amdhsa_exception_fp_denorm_src 0
		.amdhsa_exception_fp_ieee_div_zero 0
		.amdhsa_exception_fp_ieee_overflow 0
		.amdhsa_exception_fp_ieee_underflow 0
		.amdhsa_exception_fp_ieee_inexact 0
		.amdhsa_exception_int_div_zero 0
	.end_amdhsa_kernel
	.section	.text._ZN2at6native12_GLOBAL__N_140fractional_max_pool3d_backward_out_frameIN3c108BFloat16EEEvN5torch10headeronly6detail27GenericPackedTensorAccessorINS7_14TensorAccessorINS3_8ArrayRefIlEET_Lm4ENS6_16DefaultPtrTraitsElEENS_6detail16IndexBoundsCheckILm5ElEESC_Lm5ESD_lEENS8_INS9_ISB_KSC_Lm4ESD_lEESH_SJ_Lm5ESD_lEENS8_INS9_ISB_KlLm4ESD_lEESH_SM_Lm5ESD_lEE,"axG",@progbits,_ZN2at6native12_GLOBAL__N_140fractional_max_pool3d_backward_out_frameIN3c108BFloat16EEEvN5torch10headeronly6detail27GenericPackedTensorAccessorINS7_14TensorAccessorINS3_8ArrayRefIlEET_Lm4ENS6_16DefaultPtrTraitsElEENS_6detail16IndexBoundsCheckILm5ElEESC_Lm5ESD_lEENS8_INS9_ISB_KSC_Lm4ESD_lEESH_SJ_Lm5ESD_lEENS8_INS9_ISB_KlLm4ESD_lEESH_SM_Lm5ESD_lEE,comdat
.Lfunc_end3:
	.size	_ZN2at6native12_GLOBAL__N_140fractional_max_pool3d_backward_out_frameIN3c108BFloat16EEEvN5torch10headeronly6detail27GenericPackedTensorAccessorINS7_14TensorAccessorINS3_8ArrayRefIlEET_Lm4ENS6_16DefaultPtrTraitsElEENS_6detail16IndexBoundsCheckILm5ElEESC_Lm5ESD_lEENS8_INS9_ISB_KSC_Lm4ESD_lEESH_SJ_Lm5ESD_lEENS8_INS9_ISB_KlLm4ESD_lEESH_SM_Lm5ESD_lEE, .Lfunc_end3-_ZN2at6native12_GLOBAL__N_140fractional_max_pool3d_backward_out_frameIN3c108BFloat16EEEvN5torch10headeronly6detail27GenericPackedTensorAccessorINS7_14TensorAccessorINS3_8ArrayRefIlEET_Lm4ENS6_16DefaultPtrTraitsElEENS_6detail16IndexBoundsCheckILm5ElEESC_Lm5ESD_lEENS8_INS9_ISB_KSC_Lm4ESD_lEESH_SJ_Lm5ESD_lEENS8_INS9_ISB_KlLm4ESD_lEESH_SM_Lm5ESD_lEE
                                        ; -- End function
	.set _ZN2at6native12_GLOBAL__N_140fractional_max_pool3d_backward_out_frameIN3c108BFloat16EEEvN5torch10headeronly6detail27GenericPackedTensorAccessorINS7_14TensorAccessorINS3_8ArrayRefIlEET_Lm4ENS6_16DefaultPtrTraitsElEENS_6detail16IndexBoundsCheckILm5ElEESC_Lm5ESD_lEENS8_INS9_ISB_KSC_Lm4ESD_lEESH_SJ_Lm5ESD_lEENS8_INS9_ISB_KlLm4ESD_lEESH_SM_Lm5ESD_lEE.num_vgpr, 28
	.set _ZN2at6native12_GLOBAL__N_140fractional_max_pool3d_backward_out_frameIN3c108BFloat16EEEvN5torch10headeronly6detail27GenericPackedTensorAccessorINS7_14TensorAccessorINS3_8ArrayRefIlEET_Lm4ENS6_16DefaultPtrTraitsElEENS_6detail16IndexBoundsCheckILm5ElEESC_Lm5ESD_lEENS8_INS9_ISB_KSC_Lm4ESD_lEESH_SJ_Lm5ESD_lEENS8_INS9_ISB_KlLm4ESD_lEESH_SM_Lm5ESD_lEE.num_agpr, 0
	.set _ZN2at6native12_GLOBAL__N_140fractional_max_pool3d_backward_out_frameIN3c108BFloat16EEEvN5torch10headeronly6detail27GenericPackedTensorAccessorINS7_14TensorAccessorINS3_8ArrayRefIlEET_Lm4ENS6_16DefaultPtrTraitsElEENS_6detail16IndexBoundsCheckILm5ElEESC_Lm5ESD_lEENS8_INS9_ISB_KSC_Lm4ESD_lEESH_SJ_Lm5ESD_lEENS8_INS9_ISB_KlLm4ESD_lEESH_SM_Lm5ESD_lEE.numbered_sgpr, 32
	.set _ZN2at6native12_GLOBAL__N_140fractional_max_pool3d_backward_out_frameIN3c108BFloat16EEEvN5torch10headeronly6detail27GenericPackedTensorAccessorINS7_14TensorAccessorINS3_8ArrayRefIlEET_Lm4ENS6_16DefaultPtrTraitsElEENS_6detail16IndexBoundsCheckILm5ElEESC_Lm5ESD_lEENS8_INS9_ISB_KSC_Lm4ESD_lEESH_SJ_Lm5ESD_lEENS8_INS9_ISB_KlLm4ESD_lEESH_SM_Lm5ESD_lEE.num_named_barrier, 0
	.set _ZN2at6native12_GLOBAL__N_140fractional_max_pool3d_backward_out_frameIN3c108BFloat16EEEvN5torch10headeronly6detail27GenericPackedTensorAccessorINS7_14TensorAccessorINS3_8ArrayRefIlEET_Lm4ENS6_16DefaultPtrTraitsElEENS_6detail16IndexBoundsCheckILm5ElEESC_Lm5ESD_lEENS8_INS9_ISB_KSC_Lm4ESD_lEESH_SJ_Lm5ESD_lEENS8_INS9_ISB_KlLm4ESD_lEESH_SM_Lm5ESD_lEE.private_seg_size, 0
	.set _ZN2at6native12_GLOBAL__N_140fractional_max_pool3d_backward_out_frameIN3c108BFloat16EEEvN5torch10headeronly6detail27GenericPackedTensorAccessorINS7_14TensorAccessorINS3_8ArrayRefIlEET_Lm4ENS6_16DefaultPtrTraitsElEENS_6detail16IndexBoundsCheckILm5ElEESC_Lm5ESD_lEENS8_INS9_ISB_KSC_Lm4ESD_lEESH_SJ_Lm5ESD_lEENS8_INS9_ISB_KlLm4ESD_lEESH_SM_Lm5ESD_lEE.uses_vcc, 1
	.set _ZN2at6native12_GLOBAL__N_140fractional_max_pool3d_backward_out_frameIN3c108BFloat16EEEvN5torch10headeronly6detail27GenericPackedTensorAccessorINS7_14TensorAccessorINS3_8ArrayRefIlEET_Lm4ENS6_16DefaultPtrTraitsElEENS_6detail16IndexBoundsCheckILm5ElEESC_Lm5ESD_lEENS8_INS9_ISB_KSC_Lm4ESD_lEESH_SJ_Lm5ESD_lEENS8_INS9_ISB_KlLm4ESD_lEESH_SM_Lm5ESD_lEE.uses_flat_scratch, 0
	.set _ZN2at6native12_GLOBAL__N_140fractional_max_pool3d_backward_out_frameIN3c108BFloat16EEEvN5torch10headeronly6detail27GenericPackedTensorAccessorINS7_14TensorAccessorINS3_8ArrayRefIlEET_Lm4ENS6_16DefaultPtrTraitsElEENS_6detail16IndexBoundsCheckILm5ElEESC_Lm5ESD_lEENS8_INS9_ISB_KSC_Lm4ESD_lEESH_SJ_Lm5ESD_lEENS8_INS9_ISB_KlLm4ESD_lEESH_SM_Lm5ESD_lEE.has_dyn_sized_stack, 0
	.set _ZN2at6native12_GLOBAL__N_140fractional_max_pool3d_backward_out_frameIN3c108BFloat16EEEvN5torch10headeronly6detail27GenericPackedTensorAccessorINS7_14TensorAccessorINS3_8ArrayRefIlEET_Lm4ENS6_16DefaultPtrTraitsElEENS_6detail16IndexBoundsCheckILm5ElEESC_Lm5ESD_lEENS8_INS9_ISB_KSC_Lm4ESD_lEESH_SJ_Lm5ESD_lEENS8_INS9_ISB_KlLm4ESD_lEESH_SM_Lm5ESD_lEE.has_recursion, 0
	.set _ZN2at6native12_GLOBAL__N_140fractional_max_pool3d_backward_out_frameIN3c108BFloat16EEEvN5torch10headeronly6detail27GenericPackedTensorAccessorINS7_14TensorAccessorINS3_8ArrayRefIlEET_Lm4ENS6_16DefaultPtrTraitsElEENS_6detail16IndexBoundsCheckILm5ElEESC_Lm5ESD_lEENS8_INS9_ISB_KSC_Lm4ESD_lEESH_SJ_Lm5ESD_lEENS8_INS9_ISB_KlLm4ESD_lEESH_SM_Lm5ESD_lEE.has_indirect_call, 0
	.section	.AMDGPU.csdata,"",@progbits
; Kernel info:
; codeLenInByte = 5456
; TotalNumSgprs: 34
; NumVgprs: 28
; ScratchSize: 0
; MemoryBound: 0
; FloatMode: 240
; IeeeMode: 1
; LDSByteSize: 0 bytes/workgroup (compile time only)
; SGPRBlocks: 0
; VGPRBlocks: 1
; NumSGPRsForWavesPerEU: 34
; NumVGPRsForWavesPerEU: 28
; NamedBarCnt: 0
; Occupancy: 16
; WaveLimiterHint : 1
; COMPUTE_PGM_RSRC2:SCRATCH_EN: 0
; COMPUTE_PGM_RSRC2:USER_SGPR: 2
; COMPUTE_PGM_RSRC2:TRAP_HANDLER: 0
; COMPUTE_PGM_RSRC2:TGID_X_EN: 1
; COMPUTE_PGM_RSRC2:TGID_Y_EN: 1
; COMPUTE_PGM_RSRC2:TGID_Z_EN: 1
; COMPUTE_PGM_RSRC2:TIDIG_COMP_CNT: 0
	.section	.text._ZN2at6native12_GLOBAL__N_131fractional_max_pool3d_out_frameIdEEvN5torch10headeronly6detail27GenericPackedTensorAccessorINS5_14TensorAccessorIN3c108ArrayRefIlEEKT_Lm4ENS4_16DefaultPtrTraitsElEENS_6detail16IndexBoundsCheckILm5ElEESC_Lm5ESD_lEENS6_INS7_ISA_SB_Lm4ESD_lEESH_SB_Lm5ESD_lEENS6_INS7_ISA_lLm4ESD_lEESH_lLm5ESD_lEENS6_INS7_ISA_SC_Lm2ESD_lEENSG_ILm3ElEESC_Lm3ESD_lEElll,"axG",@progbits,_ZN2at6native12_GLOBAL__N_131fractional_max_pool3d_out_frameIdEEvN5torch10headeronly6detail27GenericPackedTensorAccessorINS5_14TensorAccessorIN3c108ArrayRefIlEEKT_Lm4ENS4_16DefaultPtrTraitsElEENS_6detail16IndexBoundsCheckILm5ElEESC_Lm5ESD_lEENS6_INS7_ISA_SB_Lm4ESD_lEESH_SB_Lm5ESD_lEENS6_INS7_ISA_lLm4ESD_lEESH_lLm5ESD_lEENS6_INS7_ISA_SC_Lm2ESD_lEENSG_ILm3ElEESC_Lm3ESD_lEElll,comdat
	.globl	_ZN2at6native12_GLOBAL__N_131fractional_max_pool3d_out_frameIdEEvN5torch10headeronly6detail27GenericPackedTensorAccessorINS5_14TensorAccessorIN3c108ArrayRefIlEEKT_Lm4ENS4_16DefaultPtrTraitsElEENS_6detail16IndexBoundsCheckILm5ElEESC_Lm5ESD_lEENS6_INS7_ISA_SB_Lm4ESD_lEESH_SB_Lm5ESD_lEENS6_INS7_ISA_lLm4ESD_lEESH_lLm5ESD_lEENS6_INS7_ISA_SC_Lm2ESD_lEENSG_ILm3ElEESC_Lm3ESD_lEElll ; -- Begin function _ZN2at6native12_GLOBAL__N_131fractional_max_pool3d_out_frameIdEEvN5torch10headeronly6detail27GenericPackedTensorAccessorINS5_14TensorAccessorIN3c108ArrayRefIlEEKT_Lm4ENS4_16DefaultPtrTraitsElEENS_6detail16IndexBoundsCheckILm5ElEESC_Lm5ESD_lEENS6_INS7_ISA_SB_Lm4ESD_lEESH_SB_Lm5ESD_lEENS6_INS7_ISA_lLm4ESD_lEESH_lLm5ESD_lEENS6_INS7_ISA_SC_Lm2ESD_lEENSG_ILm3ElEESC_Lm3ESD_lEElll
	.p2align	8
	.type	_ZN2at6native12_GLOBAL__N_131fractional_max_pool3d_out_frameIdEEvN5torch10headeronly6detail27GenericPackedTensorAccessorINS5_14TensorAccessorIN3c108ArrayRefIlEEKT_Lm4ENS4_16DefaultPtrTraitsElEENS_6detail16IndexBoundsCheckILm5ElEESC_Lm5ESD_lEENS6_INS7_ISA_SB_Lm4ESD_lEESH_SB_Lm5ESD_lEENS6_INS7_ISA_lLm4ESD_lEESH_lLm5ESD_lEENS6_INS7_ISA_SC_Lm2ESD_lEENSG_ILm3ElEESC_Lm3ESD_lEElll,@function
_ZN2at6native12_GLOBAL__N_131fractional_max_pool3d_out_frameIdEEvN5torch10headeronly6detail27GenericPackedTensorAccessorINS5_14TensorAccessorIN3c108ArrayRefIlEEKT_Lm4ENS4_16DefaultPtrTraitsElEENS_6detail16IndexBoundsCheckILm5ElEESC_Lm5ESD_lEENS6_INS7_ISA_SB_Lm4ESD_lEESH_SB_Lm5ESD_lEENS6_INS7_ISA_lLm4ESD_lEESH_lLm5ESD_lEENS6_INS7_ISA_SC_Lm2ESD_lEENSG_ILm3ElEESC_Lm3ESD_lEElll: ; @_ZN2at6native12_GLOBAL__N_131fractional_max_pool3d_out_frameIdEEvN5torch10headeronly6detail27GenericPackedTensorAccessorINS5_14TensorAccessorIN3c108ArrayRefIlEEKT_Lm4ENS4_16DefaultPtrTraitsElEENS_6detail16IndexBoundsCheckILm5ElEESC_Lm5ESD_lEENS6_INS7_ISA_SB_Lm4ESD_lEESH_SB_Lm5ESD_lEENS6_INS7_ISA_lLm4ESD_lEESH_lLm5ESD_lEENS6_INS7_ISA_SC_Lm2ESD_lEENSG_ILm3ElEESC_Lm3ESD_lEElll
; %bb.0:
	s_clause 0x2
	s_load_b32 s2, s[0:1], 0x164
	s_load_b128 s[4:7], s[0:1], 0x70
	s_load_b64 s[8:9], s[0:1], 0x80
	s_bfe_u32 s3, ttmp6, 0x4000c
	v_mov_b32_e32 v4, 0
	s_add_co_i32 s11, s3, 1
	s_and_b32 s10, ttmp6, 15
	s_mul_i32 s11, ttmp9, s11
	s_getreg_b32 s3, hwreg(HW_REG_IB_STS2, 6, 4)
	v_mov_b32_e32 v1, v4
	s_add_co_i32 s10, s10, s11
	s_wait_kmcnt 0x0
	s_and_b32 s2, s2, 0xffff
	s_cmp_eq_u32 s3, 0
	s_cselect_b32 s10, ttmp9, s10
	s_delay_alu instid0(SALU_CYCLE_1)
	v_mad_nc_u64_u32 v[2:3], s2, s10, v[0:1]
	s_mul_u64 s[10:11], s[8:9], s[6:7]
	s_mov_b32 s2, exec_lo
	s_mul_u64 s[12:13], s[10:11], s[4:5]
	s_delay_alu instid0(VALU_DEP_1) | instid1(SALU_CYCLE_1)
	v_cmpx_gt_i64_e64 s[12:13], v[2:3]
	s_cbranch_execz .LBB4_39
; %bb.1:
	v_or_b32_e32 v5, s11, v3
                                        ; implicit-def: $vgpr0_vgpr1
	s_delay_alu instid0(VALU_DEP_1) | instskip(SKIP_2) | instid1(SALU_CYCLE_1)
	v_cmp_ne_u64_e32 vcc_lo, 0, v[4:5]
	v_ashrrev_i32_e32 v4, 31, v3
	s_and_saveexec_b32 s2, vcc_lo
	s_xor_b32 s16, exec_lo, s2
	s_cbranch_execz .LBB4_3
; %bb.2:
	s_ashr_i32 s12, s11, 31
	s_mov_b32 s25, 0
	s_mov_b32 s13, s12
	v_dual_mov_b32 v5, v4 :: v_dual_mov_b32 v7, 0
	s_add_nc_u64 s[14:15], s[10:11], s[12:13]
	s_delay_alu instid0(SALU_CYCLE_1) | instskip(NEXT) | instid1(VALU_DEP_1)
	s_xor_b64 s[14:15], s[14:15], s[12:13]
	v_add_nc_u64_e32 v[0:1], v[2:3], v[4:5]
	s_cvt_f32_u32 s2, s14
	s_cvt_f32_u32 s11, s15
	s_sub_nc_u64 s[20:21], 0, s[14:15]
	v_dual_mov_b32 v9, v7 :: v_dual_mov_b32 v15, v7
	s_delay_alu instid0(SALU_CYCLE_1) | instskip(NEXT) | instid1(VALU_DEP_2)
	s_fmamk_f32 s2, s11, 0x4f800000, s2
	v_xor_b32_e32 v6, v0, v4
	v_xor_b32_e32 v8, v1, v4
	s_delay_alu instid0(SALU_CYCLE_1) | instskip(NEXT) | instid1(TRANS32_DEP_1)
	v_s_rcp_f32 s2, s2
	s_mul_f32 s2, s2, 0x5f7ffffc
	s_delay_alu instid0(SALU_CYCLE_3) | instskip(NEXT) | instid1(SALU_CYCLE_3)
	s_mul_f32 s11, s2, 0x2f800000
	s_trunc_f32 s11, s11
	s_delay_alu instid0(SALU_CYCLE_3) | instskip(SKIP_1) | instid1(SALU_CYCLE_2)
	s_fmamk_f32 s2, s11, 0xcf800000, s2
	s_cvt_u32_f32 s19, s11
	s_cvt_u32_f32 s18, s2
	s_delay_alu instid0(SALU_CYCLE_3) | instskip(NEXT) | instid1(SALU_CYCLE_1)
	s_mul_u64 s[22:23], s[20:21], s[18:19]
	s_mul_hi_u32 s27, s18, s23
	s_mul_i32 s26, s18, s23
	s_mul_hi_u32 s24, s18, s22
	s_mul_i32 s11, s19, s22
	s_add_nc_u64 s[26:27], s[24:25], s[26:27]
	s_mul_hi_u32 s2, s19, s22
	s_mul_hi_u32 s13, s19, s23
	s_add_co_u32 s11, s26, s11
	s_add_co_ci_u32 s24, s27, s2
	s_mul_i32 s22, s19, s23
	s_add_co_ci_u32 s23, s13, 0
	s_delay_alu instid0(SALU_CYCLE_1) | instskip(NEXT) | instid1(SALU_CYCLE_1)
	s_add_nc_u64 s[22:23], s[24:25], s[22:23]
	s_add_co_u32 s18, s18, s22
	s_cselect_b32 s2, -1, 0
	s_delay_alu instid0(SALU_CYCLE_1) | instskip(SKIP_1) | instid1(SALU_CYCLE_1)
	s_cmp_lg_u32 s2, 0
	s_add_co_ci_u32 s19, s19, s23
	s_mul_u64 s[20:21], s[20:21], s[18:19]
	s_delay_alu instid0(SALU_CYCLE_1)
	s_mul_hi_u32 s23, s18, s21
	s_mul_i32 s22, s18, s21
	s_mul_hi_u32 s24, s18, s20
	s_mul_i32 s11, s19, s20
	s_add_nc_u64 s[22:23], s[24:25], s[22:23]
	s_mul_hi_u32 s2, s19, s20
	s_mul_hi_u32 s13, s19, s21
	s_add_co_u32 s11, s22, s11
	s_add_co_ci_u32 s24, s23, s2
	s_mul_i32 s20, s19, s21
	s_add_co_ci_u32 s21, s13, 0
	s_delay_alu instid0(SALU_CYCLE_1) | instskip(NEXT) | instid1(SALU_CYCLE_1)
	s_add_nc_u64 s[20:21], s[24:25], s[20:21]
	s_add_co_u32 s2, s18, s20
	s_cselect_b32 s11, -1, 0
	v_nop
	v_mul_hi_u32 v14, v6, s2
	s_cmp_lg_u32 s11, 0
	s_add_co_ci_u32 s24, s19, s21
	s_mov_b64 s[18:19], 0xffffffff
	v_mul_u64_e32 v[10:11], s[24:25], v[6:7]
	s_and_b64 s[18:19], s[2:3], s[18:19]
	v_mul_u64_e32 v[12:13], s[24:25], v[8:9]
	v_mul_u64_e32 v[0:1], s[18:19], v[8:9]
	s_delay_alu instid0(VALU_DEP_3) | instskip(NEXT) | instid1(VALU_DEP_1)
	v_add_nc_u64_e32 v[10:11], v[14:15], v[10:11]
	v_add_co_u32 v0, vcc_lo, v10, v0
	s_delay_alu instid0(VALU_DEP_2) | instskip(SKIP_1) | instid1(VALU_DEP_1)
	v_add_co_ci_u32_e32 v14, vcc_lo, v11, v1, vcc_lo
	v_add_co_ci_u32_e32 v13, vcc_lo, 0, v13, vcc_lo
	v_add_nc_u64_e32 v[0:1], v[14:15], v[12:13]
	s_delay_alu instid0(VALU_DEP_1) | instskip(NEXT) | instid1(VALU_DEP_1)
	v_mul_u64_e32 v[10:11], s[14:15], v[0:1]
	v_sub_nc_u32_e32 v5, v8, v11
	s_delay_alu instid0(VALU_DEP_2) | instskip(NEXT) | instid1(VALU_DEP_1)
	v_sub_co_u32 v6, vcc_lo, v6, v10
	v_sub_co_ci_u32_e64 v10, null, v8, v11, vcc_lo
	s_delay_alu instid0(VALU_DEP_3) | instskip(NEXT) | instid1(VALU_DEP_3)
	v_subrev_co_ci_u32_e64 v5, null, s15, v5, vcc_lo
	v_sub_co_u32 v7, s2, v6, s14
	s_delay_alu instid0(VALU_DEP_1) | instskip(NEXT) | instid1(VALU_DEP_2)
	v_subrev_co_ci_u32_e64 v5, null, 0, v5, s2
	v_cmp_le_u32_e32 vcc_lo, s14, v7
	v_cndmask_b32_e64 v7, 0, -1, vcc_lo
	s_delay_alu instid0(VALU_DEP_3)
	v_cmp_le_u32_e32 vcc_lo, s15, v5
	v_cndmask_b32_e64 v8, 0, -1, vcc_lo
	v_cmp_le_u32_e32 vcc_lo, s14, v6
	v_cndmask_b32_e64 v11, 0, -1, vcc_lo
	;; [unrolled: 2-line block ×3, first 2 shown]
	v_cmp_eq_u32_e32 vcc_lo, s15, v5
	v_cndmask_b32_e32 v5, v8, v7, vcc_lo
	v_cmp_eq_u32_e32 vcc_lo, s15, v10
	v_add_nc_u64_e32 v[6:7], 2, v[0:1]
	v_add_nc_u64_e32 v[8:9], 1, v[0:1]
	v_cndmask_b32_e32 v10, v12, v11, vcc_lo
	v_cmp_ne_u32_e32 vcc_lo, 0, v5
	s_delay_alu instid0(VALU_DEP_2) | instskip(NEXT) | instid1(VALU_DEP_4)
	v_cmp_ne_u32_e64 s2, 0, v10
	v_dual_cndmask_b32 v5, v9, v7, vcc_lo :: v_dual_cndmask_b32 v7, v8, v6, vcc_lo
	s_delay_alu instid0(VALU_DEP_1) | instskip(NEXT) | instid1(VALU_DEP_1)
	v_dual_cndmask_b32 v0, v0, v7, s2 :: v_dual_bitop2_b32 v6, s12, v4 bitop3:0x14
	v_dual_cndmask_b32 v1, v1, v5, s2 :: v_dual_mov_b32 v7, v6
	s_delay_alu instid0(VALU_DEP_2) | instskip(NEXT) | instid1(VALU_DEP_2)
	v_xor_b32_e32 v0, v0, v6
	v_xor_b32_e32 v1, v1, v6
	s_delay_alu instid0(VALU_DEP_1)
	v_sub_nc_u64_e32 v[0:1], v[0:1], v[6:7]
.LBB4_3:
	s_and_not1_saveexec_b32 s2, s16
	s_cbranch_execz .LBB4_5
; %bb.4:
	v_cvt_f32_u32_e32 v0, s10
	s_sub_co_i32 s11, 0, s10
	s_delay_alu instid0(VALU_DEP_1) | instskip(SKIP_1) | instid1(TRANS32_DEP_1)
	v_rcp_iflag_f32_e32 v0, v0
	v_nop
	v_mul_f32_e32 v0, 0x4f7ffffe, v0
	s_delay_alu instid0(VALU_DEP_1) | instskip(NEXT) | instid1(VALU_DEP_1)
	v_cvt_u32_f32_e32 v0, v0
	v_mul_lo_u32 v1, s11, v0
	s_delay_alu instid0(VALU_DEP_1) | instskip(NEXT) | instid1(VALU_DEP_1)
	v_mul_hi_u32 v1, v0, v1
	v_add_nc_u32_e32 v0, v0, v1
	s_delay_alu instid0(VALU_DEP_1) | instskip(NEXT) | instid1(VALU_DEP_1)
	v_mul_hi_u32 v0, v2, v0
	v_mul_lo_u32 v1, v0, s10
	s_delay_alu instid0(VALU_DEP_1) | instskip(NEXT) | instid1(VALU_DEP_1)
	v_dual_add_nc_u32 v5, 1, v0 :: v_dual_sub_nc_u32 v1, v2, v1
	v_subrev_nc_u32_e32 v6, s10, v1
	v_cmp_le_u32_e32 vcc_lo, s10, v1
	s_delay_alu instid0(VALU_DEP_2) | instskip(NEXT) | instid1(VALU_DEP_1)
	v_dual_cndmask_b32 v1, v1, v6 :: v_dual_cndmask_b32 v0, v0, v5
	v_cmp_le_u32_e32 vcc_lo, s10, v1
	s_delay_alu instid0(VALU_DEP_2) | instskip(NEXT) | instid1(VALU_DEP_1)
	v_dual_add_nc_u32 v5, 1, v0 :: v_dual_mov_b32 v1, 0
	v_cndmask_b32_e32 v0, v0, v5, vcc_lo
.LBB4_5:
	s_or_b32 exec_lo, exec_lo, s2
	v_dual_mov_b32 v6, 0 :: v_dual_bitop2_b32 v7, s9, v3 bitop3:0x54
                                        ; implicit-def: $vgpr8_vgpr9
	s_mov_b32 s2, exec_lo
	s_delay_alu instid0(VALU_DEP_1)
	v_cmpx_ne_u64_e32 0, v[6:7]
	s_xor_b32 s14, exec_lo, s2
	s_cbranch_execz .LBB4_7
; %bb.6:
	s_ashr_i32 s10, s9, 31
	s_mov_b32 s23, 0
	s_mov_b32 s11, s10
	v_dual_mov_b32 v5, v4 :: v_dual_mov_b32 v11, v6
	s_add_nc_u64 s[12:13], s[8:9], s[10:11]
	v_mov_b32_e32 v13, v6
	s_xor_b64 s[12:13], s[12:13], s[10:11]
	s_delay_alu instid0(VALU_DEP_2) | instskip(SKIP_4) | instid1(SALU_CYCLE_1)
	v_add_nc_u64_e32 v[8:9], v[2:3], v[4:5]
	s_cvt_f32_u32 s2, s12
	s_cvt_f32_u32 s11, s13
	s_sub_nc_u64 s[18:19], 0, s[12:13]
	v_mov_b32_e32 v19, v6
	s_fmamk_f32 s2, s11, 0x4f800000, s2
	s_delay_alu instid0(VALU_DEP_2) | instskip(SKIP_1) | instid1(SALU_CYCLE_1)
	v_xor_b32_e32 v10, v8, v4
	v_dual_mov_b32 v7, v6 :: v_dual_bitop2_b32 v12, v9, v4 bitop3:0x14
	v_s_rcp_f32 s2, s2
	v_xor_b32_e32 v4, s10, v4
	s_delay_alu instid0(TRANS32_DEP_1) | instskip(NEXT) | instid1(SALU_CYCLE_3)
	s_mul_f32 s2, s2, 0x5f7ffffc
	s_mul_f32 s11, s2, 0x2f800000
	s_delay_alu instid0(SALU_CYCLE_3) | instskip(NEXT) | instid1(SALU_CYCLE_3)
	s_trunc_f32 s11, s11
	s_fmamk_f32 s2, s11, 0xcf800000, s2
	s_cvt_u32_f32 s17, s11
	s_delay_alu instid0(SALU_CYCLE_2) | instskip(NEXT) | instid1(SALU_CYCLE_3)
	s_cvt_u32_f32 s16, s2
	s_mul_u64 s[20:21], s[18:19], s[16:17]
	s_delay_alu instid0(SALU_CYCLE_1)
	s_mul_hi_u32 s25, s16, s21
	s_mul_i32 s24, s16, s21
	s_mul_hi_u32 s22, s16, s20
	s_mul_i32 s11, s17, s20
	s_add_nc_u64 s[24:25], s[22:23], s[24:25]
	s_mul_hi_u32 s2, s17, s20
	s_mul_hi_u32 s15, s17, s21
	s_add_co_u32 s11, s24, s11
	s_add_co_ci_u32 s22, s25, s2
	s_mul_i32 s20, s17, s21
	s_add_co_ci_u32 s21, s15, 0
	s_delay_alu instid0(SALU_CYCLE_1) | instskip(NEXT) | instid1(SALU_CYCLE_1)
	s_add_nc_u64 s[20:21], s[22:23], s[20:21]
	s_add_co_u32 s16, s16, s20
	s_cselect_b32 s2, -1, 0
	s_delay_alu instid0(SALU_CYCLE_1) | instskip(SKIP_1) | instid1(SALU_CYCLE_1)
	s_cmp_lg_u32 s2, 0
	s_add_co_ci_u32 s17, s17, s21
	s_mul_u64 s[18:19], s[18:19], s[16:17]
	s_delay_alu instid0(SALU_CYCLE_1)
	s_mul_hi_u32 s21, s16, s19
	s_mul_i32 s20, s16, s19
	s_mul_hi_u32 s22, s16, s18
	s_mul_i32 s11, s17, s18
	s_add_nc_u64 s[20:21], s[22:23], s[20:21]
	s_mul_hi_u32 s2, s17, s18
	s_mul_hi_u32 s15, s17, s19
	s_add_co_u32 s11, s20, s11
	s_add_co_ci_u32 s22, s21, s2
	s_mul_i32 s18, s17, s19
	s_add_co_ci_u32 s19, s15, 0
	s_delay_alu instid0(SALU_CYCLE_1) | instskip(NEXT) | instid1(SALU_CYCLE_1)
	s_add_nc_u64 s[18:19], s[22:23], s[18:19]
	s_add_co_u32 s2, s16, s18
	s_cselect_b32 s11, -1, 0
	v_mul_hi_u32 v18, v10, s2
	s_cmp_lg_u32 s11, 0
	s_add_co_ci_u32 s22, s17, s19
	s_mov_b64 s[16:17], 0xffffffff
	v_mul_u64_e32 v[14:15], s[22:23], v[10:11]
	s_and_b64 s[16:17], s[2:3], s[16:17]
	v_mul_u64_e32 v[16:17], s[22:23], v[12:13]
	v_mul_u64_e32 v[8:9], s[16:17], v[12:13]
	s_delay_alu instid0(VALU_DEP_3) | instskip(NEXT) | instid1(VALU_DEP_1)
	v_add_nc_u64_e32 v[14:15], v[18:19], v[14:15]
	v_add_co_u32 v5, vcc_lo, v14, v8
	s_delay_alu instid0(VALU_DEP_2) | instskip(SKIP_1) | instid1(VALU_DEP_1)
	v_add_co_ci_u32_e32 v6, vcc_lo, v15, v9, vcc_lo
	v_add_co_ci_u32_e32 v17, vcc_lo, 0, v17, vcc_lo
	v_add_nc_u64_e32 v[6:7], v[6:7], v[16:17]
	s_delay_alu instid0(VALU_DEP_1) | instskip(NEXT) | instid1(VALU_DEP_1)
	v_mul_u64_e32 v[8:9], s[12:13], v[6:7]
	v_sub_nc_u32_e32 v5, v12, v9
	s_delay_alu instid0(VALU_DEP_2) | instskip(NEXT) | instid1(VALU_DEP_1)
	v_sub_co_u32 v8, vcc_lo, v10, v8
	v_sub_co_ci_u32_e64 v12, null, v12, v9, vcc_lo
	s_delay_alu instid0(VALU_DEP_3) | instskip(NEXT) | instid1(VALU_DEP_3)
	v_subrev_co_ci_u32_e64 v5, null, s13, v5, vcc_lo
	v_sub_co_u32 v10, s2, v8, s12
	s_delay_alu instid0(VALU_DEP_1) | instskip(NEXT) | instid1(VALU_DEP_2)
	v_subrev_co_ci_u32_e64 v5, null, 0, v5, s2
	v_cmp_le_u32_e32 vcc_lo, s12, v10
	v_cndmask_b32_e64 v9, 0, -1, vcc_lo
	s_delay_alu instid0(VALU_DEP_3)
	v_cmp_le_u32_e32 vcc_lo, s13, v5
	v_cndmask_b32_e64 v10, 0, -1, vcc_lo
	v_cmp_le_u32_e32 vcc_lo, s12, v8
	v_cndmask_b32_e64 v13, 0, -1, vcc_lo
	;; [unrolled: 2-line block ×3, first 2 shown]
	v_cmp_eq_u32_e32 vcc_lo, s13, v5
	v_cndmask_b32_e32 v5, v10, v9, vcc_lo
	v_cmp_eq_u32_e32 vcc_lo, s13, v12
	v_add_nc_u64_e32 v[8:9], 2, v[6:7]
	v_add_nc_u64_e32 v[10:11], 1, v[6:7]
	v_cndmask_b32_e32 v12, v14, v13, vcc_lo
	v_cmp_ne_u32_e32 vcc_lo, 0, v5
	s_delay_alu instid0(VALU_DEP_2) | instskip(NEXT) | instid1(VALU_DEP_4)
	v_cmp_ne_u32_e64 s2, 0, v12
	v_dual_cndmask_b32 v8, v10, v8 :: v_dual_cndmask_b32 v5, v11, v9
	s_delay_alu instid0(VALU_DEP_1) | instskip(NEXT) | instid1(VALU_DEP_1)
	v_dual_cndmask_b32 v6, v6, v8, s2 :: v_dual_cndmask_b32 v7, v7, v5, s2
	v_dual_mov_b32 v5, v4 :: v_dual_bitop2_b32 v6, v6, v4 bitop3:0x14
	s_delay_alu instid0(VALU_DEP_2) | instskip(NEXT) | instid1(VALU_DEP_1)
	v_xor_b32_e32 v7, v7, v4
	v_sub_nc_u64_e32 v[8:9], v[6:7], v[4:5]
.LBB4_7:
	s_and_not1_saveexec_b32 s2, s14
	s_cbranch_execz .LBB4_9
; %bb.8:
	v_cvt_f32_u32_e32 v4, s8
	s_sub_co_i32 s10, 0, s8
	v_mov_b32_e32 v9, 0
	s_delay_alu instid0(VALU_DEP_2) | instskip(SKIP_1) | instid1(TRANS32_DEP_1)
	v_rcp_iflag_f32_e32 v4, v4
	v_nop
	v_mul_f32_e32 v4, 0x4f7ffffe, v4
	s_delay_alu instid0(VALU_DEP_1) | instskip(NEXT) | instid1(VALU_DEP_1)
	v_cvt_u32_f32_e32 v4, v4
	v_mul_lo_u32 v5, s10, v4
	s_delay_alu instid0(VALU_DEP_1) | instskip(NEXT) | instid1(VALU_DEP_1)
	v_mul_hi_u32 v5, v4, v5
	v_add_nc_u32_e32 v4, v4, v5
	s_delay_alu instid0(VALU_DEP_1) | instskip(NEXT) | instid1(VALU_DEP_1)
	v_mul_hi_u32 v4, v2, v4
	v_mul_lo_u32 v5, v4, s8
	s_delay_alu instid0(VALU_DEP_1) | instskip(NEXT) | instid1(VALU_DEP_1)
	v_dual_add_nc_u32 v6, 1, v4 :: v_dual_sub_nc_u32 v5, v2, v5
	v_subrev_nc_u32_e32 v7, s8, v5
	v_cmp_le_u32_e32 vcc_lo, s8, v5
	s_delay_alu instid0(VALU_DEP_2) | instskip(NEXT) | instid1(VALU_DEP_1)
	v_dual_cndmask_b32 v5, v5, v7 :: v_dual_cndmask_b32 v4, v4, v6
	v_cmp_le_u32_e32 vcc_lo, s8, v5
	s_delay_alu instid0(VALU_DEP_2) | instskip(NEXT) | instid1(VALU_DEP_1)
	v_add_nc_u32_e32 v6, 1, v4
	v_cndmask_b32_e32 v8, v4, v6, vcc_lo
.LBB4_9:
	s_or_b32 exec_lo, exec_lo, s2
	s_delay_alu instid0(VALU_DEP_1) | instskip(SKIP_1) | instid1(VALU_DEP_1)
	v_dual_mov_b32 v6, 0 :: v_dual_bitop2_b32 v7, s7, v9 bitop3:0x54
                                        ; implicit-def: $vgpr4_vgpr5
	s_mov_b32 s2, exec_lo
	v_cmpx_ne_u64_e32 0, v[6:7]
	s_xor_b32 s12, exec_lo, s2
	s_cbranch_execz .LBB4_11
; %bb.10:
	s_ashr_i32 s10, s7, 31
	s_mov_b32 s21, 0
	s_mov_b32 s11, s10
	v_dual_mov_b32 v13, v6 :: v_dual_ashrrev_i32 v4, 31, v9
	s_add_nc_u64 s[14:15], s[6:7], s[10:11]
	v_dual_mov_b32 v21, v6 :: v_dual_mov_b32 v7, v6
	s_xor_b64 s[10:11], s[14:15], s[10:11]
	s_delay_alu instid0(VALU_DEP_2) | instskip(SKIP_3) | instid1(VALU_DEP_1)
	v_mov_b32_e32 v5, v4
	s_cvt_f32_u32 s2, s10
	s_cvt_f32_u32 s13, s11
	s_sub_nc_u64 s[16:17], 0, s[10:11]
	v_add_nc_u64_e32 v[10:11], v[8:9], v[4:5]
	s_delay_alu instid0(SALU_CYCLE_1) | instskip(SKIP_1) | instid1(SALU_CYCLE_2)
	s_fmamk_f32 s2, s13, 0x4f800000, s2
	v_mov_b32_e32 v15, v6
	v_s_rcp_f32 s2, s2
	s_delay_alu instid0(VALU_DEP_2) | instskip(NEXT) | instid1(VALU_DEP_3)
	v_xor_b32_e32 v12, v10, v4
	v_xor_b32_e32 v14, v11, v4
	s_delay_alu instid0(TRANS32_DEP_1) | instskip(NEXT) | instid1(SALU_CYCLE_3)
	s_mul_f32 s2, s2, 0x5f7ffffc
	s_mul_f32 s13, s2, 0x2f800000
	s_delay_alu instid0(SALU_CYCLE_3) | instskip(NEXT) | instid1(SALU_CYCLE_3)
	s_trunc_f32 s13, s13
	s_fmamk_f32 s2, s13, 0xcf800000, s2
	s_cvt_u32_f32 s15, s13
	s_delay_alu instid0(SALU_CYCLE_2) | instskip(NEXT) | instid1(SALU_CYCLE_3)
	s_cvt_u32_f32 s14, s2
	s_mul_u64 s[18:19], s[16:17], s[14:15]
	s_delay_alu instid0(SALU_CYCLE_1)
	s_mul_hi_u32 s23, s14, s19
	s_mul_i32 s22, s14, s19
	s_mul_hi_u32 s20, s14, s18
	s_mul_i32 s13, s15, s18
	s_add_nc_u64 s[22:23], s[20:21], s[22:23]
	s_mul_hi_u32 s2, s15, s18
	s_mul_hi_u32 s24, s15, s19
	s_add_co_u32 s13, s22, s13
	s_add_co_ci_u32 s20, s23, s2
	s_mul_i32 s18, s15, s19
	s_add_co_ci_u32 s19, s24, 0
	s_delay_alu instid0(SALU_CYCLE_1) | instskip(NEXT) | instid1(SALU_CYCLE_1)
	s_add_nc_u64 s[18:19], s[20:21], s[18:19]
	s_add_co_u32 s14, s14, s18
	s_cselect_b32 s2, -1, 0
	s_delay_alu instid0(SALU_CYCLE_1) | instskip(SKIP_1) | instid1(SALU_CYCLE_1)
	s_cmp_lg_u32 s2, 0
	s_add_co_ci_u32 s15, s15, s19
	s_mul_u64 s[16:17], s[16:17], s[14:15]
	s_delay_alu instid0(SALU_CYCLE_1)
	s_mul_hi_u32 s19, s14, s17
	s_mul_i32 s18, s14, s17
	s_mul_hi_u32 s20, s14, s16
	s_mul_i32 s13, s15, s16
	s_add_nc_u64 s[18:19], s[20:21], s[18:19]
	s_mul_hi_u32 s2, s15, s16
	s_mul_hi_u32 s22, s15, s17
	s_add_co_u32 s13, s18, s13
	s_add_co_ci_u32 s20, s19, s2
	s_mul_i32 s16, s15, s17
	s_add_co_ci_u32 s17, s22, 0
	s_delay_alu instid0(SALU_CYCLE_1) | instskip(NEXT) | instid1(SALU_CYCLE_1)
	s_add_nc_u64 s[16:17], s[20:21], s[16:17]
	s_add_co_u32 s2, s14, s16
	s_cselect_b32 s13, -1, 0
	v_mul_hi_u32 v20, v12, s2
	s_cmp_lg_u32 s13, 0
	s_add_co_ci_u32 s20, s15, s17
	s_mov_b64 s[14:15], 0xffffffff
	v_mul_u64_e32 v[16:17], s[20:21], v[12:13]
	s_and_b64 s[14:15], s[2:3], s[14:15]
	v_mul_u64_e32 v[18:19], s[20:21], v[14:15]
	v_mul_u64_e32 v[10:11], s[14:15], v[14:15]
	s_delay_alu instid0(VALU_DEP_3) | instskip(NEXT) | instid1(VALU_DEP_1)
	v_add_nc_u64_e32 v[16:17], v[20:21], v[16:17]
	v_add_co_u32 v6, vcc_lo, v16, v10
	s_delay_alu instid0(VALU_DEP_2) | instskip(SKIP_1) | instid1(VALU_DEP_1)
	v_add_co_ci_u32_e32 v6, vcc_lo, v17, v11, vcc_lo
	v_add_co_ci_u32_e32 v19, vcc_lo, 0, v19, vcc_lo
	v_add_nc_u64_e32 v[6:7], v[6:7], v[18:19]
	s_delay_alu instid0(VALU_DEP_1) | instskip(NEXT) | instid1(VALU_DEP_1)
	v_mul_u64_e32 v[6:7], s[10:11], v[6:7]
	v_sub_nc_u32_e32 v10, v14, v7
	s_delay_alu instid0(VALU_DEP_2) | instskip(NEXT) | instid1(VALU_DEP_1)
	v_sub_co_u32 v6, vcc_lo, v12, v6
	v_sub_co_ci_u32_e64 v7, null, v14, v7, vcc_lo
	s_delay_alu instid0(VALU_DEP_3) | instskip(NEXT) | instid1(VALU_DEP_3)
	v_subrev_co_ci_u32_e64 v10, null, s11, v10, vcc_lo
	v_sub_co_u32 v11, vcc_lo, v6, s10
	v_cmp_le_u32_e64 s2, s10, v6
	s_delay_alu instid0(VALU_DEP_3) | instskip(SKIP_1) | instid1(VALU_DEP_3)
	v_subrev_co_ci_u32_e64 v12, null, 0, v10, vcc_lo
	v_subrev_co_ci_u32_e64 v10, null, s11, v10, vcc_lo
	v_cndmask_b32_e64 v13, 0, -1, s2
	v_cmp_le_u32_e64 s2, s10, v11
	v_cmp_le_u32_e32 vcc_lo, s11, v7
	s_delay_alu instid0(VALU_DEP_2) | instskip(SKIP_3) | instid1(VALU_DEP_3)
	v_cndmask_b32_e64 v14, 0, -1, s2
	v_cmp_le_u32_e64 s2, s11, v12
	v_cndmask_b32_e64 v16, 0, -1, vcc_lo
	v_cmp_eq_u32_e32 vcc_lo, s11, v12
	v_cndmask_b32_e64 v15, 0, -1, s2
	v_cmp_eq_u32_e64 s2, s11, v7
	s_delay_alu instid0(VALU_DEP_2) | instskip(SKIP_1) | instid1(VALU_DEP_1)
	v_cndmask_b32_e32 v14, v15, v14, vcc_lo
	v_sub_co_u32 v15, vcc_lo, v11, s10
	v_subrev_co_ci_u32_e64 v10, null, 0, v10, vcc_lo
	s_delay_alu instid0(VALU_DEP_3) | instskip(NEXT) | instid1(VALU_DEP_3)
	v_cmp_ne_u32_e32 vcc_lo, 0, v14
	v_dual_cndmask_b32 v13, v16, v13, s2 :: v_dual_cndmask_b32 v11, v11, v15, vcc_lo
	s_delay_alu instid0(VALU_DEP_3) | instskip(NEXT) | instid1(VALU_DEP_2)
	v_cndmask_b32_e32 v10, v12, v10, vcc_lo
	v_cmp_ne_u32_e32 vcc_lo, 0, v13
	s_delay_alu instid0(VALU_DEP_2) | instskip(NEXT) | instid1(VALU_DEP_1)
	v_dual_cndmask_b32 v6, v6, v11 :: v_dual_cndmask_b32 v7, v7, v10
	v_xor_b32_e32 v6, v6, v4
	s_delay_alu instid0(VALU_DEP_2) | instskip(NEXT) | instid1(VALU_DEP_1)
	v_xor_b32_e32 v7, v7, v4
	v_sub_nc_u64_e32 v[4:5], v[6:7], v[4:5]
.LBB4_11:
	s_and_not1_saveexec_b32 s2, s12
	s_cbranch_execz .LBB4_13
; %bb.12:
	v_cvt_f32_u32_e32 v4, s6
	s_sub_co_i32 s10, 0, s6
	s_delay_alu instid0(VALU_DEP_1) | instskip(SKIP_1) | instid1(TRANS32_DEP_1)
	v_rcp_iflag_f32_e32 v4, v4
	v_nop
	v_mul_f32_e32 v4, 0x4f7ffffe, v4
	s_delay_alu instid0(VALU_DEP_1) | instskip(NEXT) | instid1(VALU_DEP_1)
	v_cvt_u32_f32_e32 v4, v4
	v_mul_lo_u32 v5, s10, v4
	s_delay_alu instid0(VALU_DEP_1) | instskip(NEXT) | instid1(VALU_DEP_1)
	v_mul_hi_u32 v5, v4, v5
	v_add_nc_u32_e32 v4, v4, v5
	s_delay_alu instid0(VALU_DEP_1) | instskip(NEXT) | instid1(VALU_DEP_1)
	v_mul_hi_u32 v4, v8, v4
	v_mul_lo_u32 v4, v4, s6
	s_delay_alu instid0(VALU_DEP_1) | instskip(NEXT) | instid1(VALU_DEP_1)
	v_sub_nc_u32_e32 v4, v8, v4
	v_subrev_nc_u32_e32 v5, s6, v4
	v_cmp_le_u32_e32 vcc_lo, s6, v4
	s_delay_alu instid0(VALU_DEP_2) | instskip(NEXT) | instid1(VALU_DEP_1)
	v_cndmask_b32_e32 v4, v4, v5, vcc_lo
	v_subrev_nc_u32_e32 v5, s6, v4
	v_cmp_le_u32_e32 vcc_lo, s6, v4
	s_delay_alu instid0(VALU_DEP_2)
	v_dual_cndmask_b32 v4, v4, v5 :: v_dual_mov_b32 v5, 0
.LBB4_13:
	s_or_b32 exec_lo, exec_lo, s2
	s_clause 0x4
	s_load_b64 s[20:21], s[0:1], 0x150
	s_load_b128 s[12:15], s[0:1], 0x140
	s_load_b128 s[24:27], s[0:1], 0x128
	s_load_b64 s[10:11], s[0:1], 0x108
	s_load_b64 s[22:23], s[0:1], 0x18
	s_bfe_u32 s2, ttmp6, 0x40014
	s_bfe_u32 s17, ttmp6, 0x40010
	s_lshr_b32 s16, ttmp7, 16
	s_add_co_i32 s2, s2, 1
	s_and_b32 s28, ttmp7, 0xffff
	s_add_co_i32 s17, s17, 1
	s_mul_i32 s2, s16, s2
	s_bfe_u32 s18, ttmp6, 0x40008
	s_mul_i32 s17, s28, s17
	s_bfe_u32 s19, ttmp6, 0x40004
	s_add_co_i32 s18, s18, s2
	s_add_co_i32 s29, s19, s17
	s_cmp_eq_u32 s3, 0
	s_mov_b32 s17, 0
	s_cselect_b32 s18, s16, s18
	s_mov_b32 s19, s17
	s_cselect_b32 s16, s28, s29
	s_wait_kmcnt 0x0
	s_mul_u64 s[2:3], s[24:25], s[18:19]
	s_delay_alu instid0(SALU_CYCLE_1) | instskip(NEXT) | instid1(SALU_CYCLE_1)
	s_lshl_b64 s[2:3], s[2:3], 3
	s_add_nc_u64 s[24:25], s[10:11], s[2:3]
	s_sub_nc_u64 s[10:11], s[22:23], s[12:13]
	s_add_nc_u64 s[2:3], s[4:5], -1
	v_mov_b64_e32 v[6:7], s[10:11]
	s_mul_u64 s[4:5], s[26:27], s[16:17]
	s_mov_b32 s22, exec_lo
	s_lshl_b64 s[4:5], s[4:5], 3
	s_delay_alu instid0(SALU_CYCLE_1)
	s_add_nc_u64 s[4:5], s[24:25], s[4:5]
	v_cmpx_ne_u64_e64 s[2:3], v[0:1]
	s_cbranch_execz .LBB4_15
; %bb.14:
	v_cvt_f64_i32_e32 v[6:7], s11
	v_cvt_f64_i32_e32 v[10:11], s3
	v_cvt_f64_u32_e32 v[12:13], s10
	v_cvt_f64_u32_e32 v[14:15], s2
	;; [unrolled: 1-line block ×3, first 2 shown]
	s_load_b64 s[2:3], s[4:5], 0x0
	v_ldexp_f64 v[6:7], v[6:7], 32
	v_ldexp_f64 v[10:11], v[10:11], 32
	s_delay_alu instid0(VALU_DEP_2) | instskip(NEXT) | instid1(VALU_DEP_2)
	v_add_f64_e32 v[6:7], v[6:7], v[12:13]
	v_add_f64_e32 v[10:11], v[10:11], v[14:15]
	s_delay_alu instid0(VALU_DEP_1) | instskip(SKIP_1) | instid1(VALU_DEP_2)
	v_div_scale_f64 v[12:13], null, v[10:11], v[10:11], v[6:7]
	v_div_scale_f64 v[18:19], vcc_lo, v[6:7], v[10:11], v[6:7]
	v_rcp_f64_e32 v[14:15], v[12:13]
	v_nop
	s_delay_alu instid0(TRANS32_DEP_1) | instskip(NEXT) | instid1(VALU_DEP_1)
	v_fma_f64 v[16:17], -v[12:13], v[14:15], 1.0
	v_fmac_f64_e32 v[14:15], v[14:15], v[16:17]
	s_delay_alu instid0(VALU_DEP_1) | instskip(NEXT) | instid1(VALU_DEP_1)
	v_fma_f64 v[16:17], -v[12:13], v[14:15], 1.0
	v_fmac_f64_e32 v[14:15], v[14:15], v[16:17]
	v_cvt_f64_i32_e32 v[16:17], v1
	s_delay_alu instid0(VALU_DEP_2) | instskip(NEXT) | instid1(VALU_DEP_2)
	v_mul_f64_e32 v[20:21], v[18:19], v[14:15]
	v_ldexp_f64 v[16:17], v[16:17], 32
	s_delay_alu instid0(VALU_DEP_2) | instskip(NEXT) | instid1(VALU_DEP_2)
	v_fma_f64 v[12:13], -v[12:13], v[20:21], v[18:19]
	v_add_f64_e32 v[16:17], v[16:17], v[22:23]
	s_delay_alu instid0(VALU_DEP_2) | instskip(SKIP_1) | instid1(VALU_DEP_2)
	v_div_fmas_f64 v[12:13], v[12:13], v[14:15], v[20:21]
	s_wait_kmcnt 0x0
	v_add_f64_e32 v[14:15], s[2:3], v[16:17]
	s_delay_alu instid0(VALU_DEP_2) | instskip(NEXT) | instid1(VALU_DEP_1)
	v_div_fixup_f64 v[6:7], v[12:13], v[10:11], v[6:7]
	v_mul_f64_e32 v[10:11], v[6:7], v[14:15]
	v_mul_f64_e32 v[6:7], s[2:3], v[6:7]
	s_delay_alu instid0(VALU_DEP_2) | instskip(NEXT) | instid1(VALU_DEP_2)
	v_trunc_f64_e32 v[10:11], v[10:11]
	v_trunc_f64_e32 v[6:7], v[6:7]
	s_delay_alu instid0(VALU_DEP_2) | instskip(NEXT) | instid1(VALU_DEP_2)
	v_ldexp_f64 v[12:13], v[10:11], 0xffffffe0
	v_ldexp_f64 v[14:15], v[6:7], 0xffffffe0
	s_delay_alu instid0(VALU_DEP_2) | instskip(NEXT) | instid1(VALU_DEP_2)
	v_floor_f64_e32 v[12:13], v[12:13]
	v_floor_f64_e32 v[14:15], v[14:15]
	s_delay_alu instid0(VALU_DEP_2) | instskip(NEXT) | instid1(VALU_DEP_2)
	v_fmac_f64_e32 v[10:11], 0xc1f00000, v[12:13]
	v_fmac_f64_e32 v[6:7], 0xc1f00000, v[14:15]
	v_cvt_i32_f64_e32 v13, v[12:13]
	s_delay_alu instid0(VALU_DEP_3) | instskip(NEXT) | instid1(VALU_DEP_3)
	v_cvt_u32_f64_e32 v12, v[10:11]
	v_cvt_u32_f64_e32 v6, v[6:7]
	v_cvt_i32_f64_e32 v7, v[14:15]
	s_delay_alu instid0(VALU_DEP_1)
	v_sub_nc_u64_e32 v[6:7], v[12:13], v[6:7]
.LBB4_15:
	s_or_b32 exec_lo, exec_lo, s22
	s_clause 0x1
	s_load_b64 s[2:3], s[0:1], 0x20
	s_load_b64 s[10:11], s[0:1], 0x138
	s_add_nc_u64 s[6:7], s[6:7], -1
	s_mov_b32 s24, exec_lo
	s_wait_kmcnt 0x0
	s_sub_nc_u64 s[22:23], s[2:3], s[14:15]
	s_delay_alu instid0(SALU_CYCLE_1)
	v_mov_b64_e32 v[10:11], s[22:23]
	v_cmpx_ne_u64_e64 s[6:7], v[4:5]
	s_cbranch_execz .LBB4_17
; %bb.16:
	v_cvt_f64_i32_e32 v[10:11], s23
	v_cvt_f64_i32_e32 v[12:13], s7
	v_cvt_f64_u32_e32 v[14:15], s22
	v_cvt_f64_u32_e32 v[16:17], s6
	;; [unrolled: 1-line block ×3, first 2 shown]
	s_lshl_b64 s[6:7], s[10:11], 3
	s_delay_alu instid0(SALU_CYCLE_1) | instskip(SKIP_3) | instid1(VALU_DEP_2)
	s_add_nc_u64 s[6:7], s[4:5], s[6:7]
	s_load_b64 s[6:7], s[6:7], 0x0
	v_ldexp_f64 v[10:11], v[10:11], 32
	v_ldexp_f64 v[12:13], v[12:13], 32
	v_add_f64_e32 v[10:11], v[10:11], v[14:15]
	s_delay_alu instid0(VALU_DEP_2) | instskip(NEXT) | instid1(VALU_DEP_1)
	v_add_f64_e32 v[12:13], v[12:13], v[16:17]
	v_div_scale_f64 v[14:15], null, v[12:13], v[12:13], v[10:11]
	v_div_scale_f64 v[20:21], vcc_lo, v[10:11], v[12:13], v[10:11]
	s_delay_alu instid0(VALU_DEP_2) | instskip(SKIP_1) | instid1(TRANS32_DEP_1)
	v_rcp_f64_e32 v[16:17], v[14:15]
	v_nop
	v_fma_f64 v[18:19], -v[14:15], v[16:17], 1.0
	s_delay_alu instid0(VALU_DEP_1) | instskip(NEXT) | instid1(VALU_DEP_1)
	v_fmac_f64_e32 v[16:17], v[16:17], v[18:19]
	v_fma_f64 v[18:19], -v[14:15], v[16:17], 1.0
	s_delay_alu instid0(VALU_DEP_1) | instskip(SKIP_1) | instid1(VALU_DEP_2)
	v_fmac_f64_e32 v[16:17], v[16:17], v[18:19]
	v_cvt_f64_i32_e32 v[18:19], v5
	v_mul_f64_e32 v[22:23], v[20:21], v[16:17]
	s_delay_alu instid0(VALU_DEP_2) | instskip(NEXT) | instid1(VALU_DEP_2)
	v_ldexp_f64 v[18:19], v[18:19], 32
	v_fma_f64 v[14:15], -v[14:15], v[22:23], v[20:21]
	s_delay_alu instid0(VALU_DEP_2) | instskip(NEXT) | instid1(VALU_DEP_2)
	v_add_f64_e32 v[18:19], v[18:19], v[24:25]
	v_div_fmas_f64 v[14:15], v[14:15], v[16:17], v[22:23]
	s_wait_kmcnt 0x0
	s_delay_alu instid0(VALU_DEP_2) | instskip(NEXT) | instid1(VALU_DEP_2)
	v_add_f64_e32 v[16:17], s[6:7], v[18:19]
	v_div_fixup_f64 v[10:11], v[14:15], v[12:13], v[10:11]
	s_delay_alu instid0(VALU_DEP_1) | instskip(SKIP_1) | instid1(VALU_DEP_2)
	v_mul_f64_e32 v[12:13], v[10:11], v[16:17]
	v_mul_f64_e32 v[10:11], s[6:7], v[10:11]
	v_trunc_f64_e32 v[12:13], v[12:13]
	s_delay_alu instid0(VALU_DEP_2) | instskip(NEXT) | instid1(VALU_DEP_2)
	v_trunc_f64_e32 v[10:11], v[10:11]
	v_ldexp_f64 v[14:15], v[12:13], 0xffffffe0
	s_delay_alu instid0(VALU_DEP_2) | instskip(NEXT) | instid1(VALU_DEP_2)
	v_ldexp_f64 v[16:17], v[10:11], 0xffffffe0
	v_floor_f64_e32 v[14:15], v[14:15]
	s_delay_alu instid0(VALU_DEP_2) | instskip(NEXT) | instid1(VALU_DEP_2)
	v_floor_f64_e32 v[16:17], v[16:17]
	v_fmac_f64_e32 v[12:13], 0xc1f00000, v[14:15]
	s_delay_alu instid0(VALU_DEP_2) | instskip(SKIP_1) | instid1(VALU_DEP_3)
	v_fmac_f64_e32 v[10:11], 0xc1f00000, v[16:17]
	v_cvt_i32_f64_e32 v15, v[14:15]
	v_cvt_u32_f64_e32 v14, v[12:13]
	s_delay_alu instid0(VALU_DEP_3) | instskip(SKIP_1) | instid1(VALU_DEP_1)
	v_cvt_u32_f64_e32 v10, v[10:11]
	v_cvt_i32_f64_e32 v11, v[16:17]
	v_sub_nc_u64_e32 v[10:11], v[14:15], v[10:11]
.LBB4_17:
	s_or_b32 exec_lo, exec_lo, s24
	v_mul_u64_e32 v[8:9], s[8:9], v[8:9]
	s_load_b64 s[22:23], s[0:1], 0x28
	s_add_nc_u64 s[6:7], s[8:9], -1
	s_mov_b32 s24, exec_lo
	s_wait_kmcnt 0x0
	s_sub_nc_u64 s[8:9], s[22:23], s[20:21]
	s_delay_alu instid0(SALU_CYCLE_1) | instskip(NEXT) | instid1(VALU_DEP_2)
	v_mov_b64_e32 v[12:13], s[8:9]
	v_sub_nc_u64_e32 v[2:3], v[2:3], v[8:9]
	s_delay_alu instid0(VALU_DEP_1)
	v_cmpx_ne_u64_e64 s[6:7], v[2:3]
	s_cbranch_execz .LBB4_19
; %bb.18:
	v_cvt_f64_i32_e32 v[8:9], s9
	v_cvt_f64_i32_e32 v[12:13], s7
	v_cvt_f64_u32_e32 v[14:15], s8
	v_cvt_f64_u32_e32 v[16:17], s6
	;; [unrolled: 1-line block ×3, first 2 shown]
	s_lshl_b64 s[6:7], s[10:11], 4
	s_delay_alu instid0(SALU_CYCLE_1) | instskip(SKIP_3) | instid1(VALU_DEP_2)
	s_add_nc_u64 s[4:5], s[4:5], s[6:7]
	s_load_b64 s[4:5], s[4:5], 0x0
	v_ldexp_f64 v[8:9], v[8:9], 32
	v_ldexp_f64 v[12:13], v[12:13], 32
	v_add_f64_e32 v[8:9], v[8:9], v[14:15]
	s_delay_alu instid0(VALU_DEP_2) | instskip(NEXT) | instid1(VALU_DEP_1)
	v_add_f64_e32 v[12:13], v[12:13], v[16:17]
	v_div_scale_f64 v[14:15], null, v[12:13], v[12:13], v[8:9]
	v_div_scale_f64 v[20:21], vcc_lo, v[8:9], v[12:13], v[8:9]
	s_delay_alu instid0(VALU_DEP_2) | instskip(SKIP_1) | instid1(TRANS32_DEP_1)
	v_rcp_f64_e32 v[16:17], v[14:15]
	v_nop
	v_fma_f64 v[18:19], -v[14:15], v[16:17], 1.0
	s_delay_alu instid0(VALU_DEP_1) | instskip(NEXT) | instid1(VALU_DEP_1)
	v_fmac_f64_e32 v[16:17], v[16:17], v[18:19]
	v_fma_f64 v[18:19], -v[14:15], v[16:17], 1.0
	s_delay_alu instid0(VALU_DEP_1) | instskip(SKIP_1) | instid1(VALU_DEP_2)
	v_fmac_f64_e32 v[16:17], v[16:17], v[18:19]
	v_cvt_f64_u32_e32 v[18:19], v3
	v_mul_f64_e32 v[22:23], v[20:21], v[16:17]
	s_delay_alu instid0(VALU_DEP_2) | instskip(NEXT) | instid1(VALU_DEP_2)
	v_ldexp_f64 v[18:19], v[18:19], 32
	v_fma_f64 v[14:15], -v[14:15], v[22:23], v[20:21]
	s_delay_alu instid0(VALU_DEP_2) | instskip(NEXT) | instid1(VALU_DEP_2)
	v_add_f64_e32 v[18:19], v[18:19], v[24:25]
	v_div_fmas_f64 v[14:15], v[14:15], v[16:17], v[22:23]
	s_wait_kmcnt 0x0
	s_delay_alu instid0(VALU_DEP_2) | instskip(NEXT) | instid1(VALU_DEP_2)
	v_add_f64_e32 v[16:17], s[4:5], v[18:19]
	v_div_fixup_f64 v[8:9], v[14:15], v[12:13], v[8:9]
	s_delay_alu instid0(VALU_DEP_1) | instskip(SKIP_1) | instid1(VALU_DEP_2)
	v_mul_f64_e32 v[12:13], v[8:9], v[16:17]
	v_mul_f64_e32 v[8:9], s[4:5], v[8:9]
	v_trunc_f64_e32 v[12:13], v[12:13]
	s_delay_alu instid0(VALU_DEP_2) | instskip(NEXT) | instid1(VALU_DEP_2)
	v_trunc_f64_e32 v[8:9], v[8:9]
	v_ldexp_f64 v[14:15], v[12:13], 0xffffffe0
	s_delay_alu instid0(VALU_DEP_2) | instskip(NEXT) | instid1(VALU_DEP_2)
	v_ldexp_f64 v[16:17], v[8:9], 0xffffffe0
	v_floor_f64_e32 v[14:15], v[14:15]
	s_delay_alu instid0(VALU_DEP_2) | instskip(NEXT) | instid1(VALU_DEP_2)
	v_floor_f64_e32 v[16:17], v[16:17]
	v_fmac_f64_e32 v[12:13], 0xc1f00000, v[14:15]
	s_delay_alu instid0(VALU_DEP_2) | instskip(SKIP_1) | instid1(VALU_DEP_3)
	v_fmac_f64_e32 v[8:9], 0xc1f00000, v[16:17]
	v_cvt_i32_f64_e32 v15, v[14:15]
	v_cvt_u32_f64_e32 v14, v[12:13]
	s_delay_alu instid0(VALU_DEP_3) | instskip(SKIP_1) | instid1(VALU_DEP_1)
	v_cvt_u32_f64_e32 v8, v[8:9]
	v_cvt_i32_f64_e32 v9, v[16:17]
	v_sub_nc_u64_e32 v[12:13], v[14:15], v[8:9]
.LBB4_19:
	s_or_b32 exec_lo, exec_lo, s24
	v_mad_nc_u64_u32 v[8:9], s2, v6, v[10:11]
	v_cmp_lt_i64_e64 s4, s[12:13], 1
	s_and_b32 vcc_lo, exec_lo, s4
	v_mad_u32 v9, s3, v6, v9
	s_delay_alu instid0(VALU_DEP_1) | instskip(NEXT) | instid1(VALU_DEP_1)
	v_mad_u32 v9, s2, v7, v9
	v_mul_u64_e32 v[16:17], s[22:23], v[8:9]
	s_delay_alu instid0(VALU_DEP_1)
	v_add_nc_u64_e32 v[8:9], v[12:13], v[16:17]
	s_cbranch_vccnz .LBB4_37
; %bb.20:
	s_clause 0x2
	s_load_b256 s[4:11], s[0:1], 0x30
	s_load_b64 s[26:27], s[0:1], 0x50
	s_load_b64 s[24:25], s[0:1], 0x0
	v_add_nc_u64_e32 v[18:19], s[12:13], v[6:7]
	s_add_nc_u64 s[12:13], s[20:21], -8
	v_add_nc_u64_e32 v[20:21], s[14:15], v[10:11]
	v_cmp_gt_i64_e64 s14, s[14:15], 0
	v_cmp_gt_u64_e64 s15, s[12:13], -7
	v_add_nc_u64_e32 v[22:23], s[20:21], v[12:13]
	s_wait_kmcnt 0x0
	v_mul_u64_e32 v[14:15], s[10:11], v[10:11]
	v_mul_u64_e32 v[24:25], s[26:27], v[12:13]
	;; [unrolled: 1-line block ×3, first 2 shown]
	s_mul_u64 s[4:5], s[4:5], s[18:19]
	s_mul_u64 s[6:7], s[6:7], s[16:17]
	s_lshl_b64 s[4:5], s[4:5], 3
	s_lshl_b64 s[6:7], s[6:7], 3
	s_add_nc_u64 s[12:13], s[24:25], s[4:5]
	v_cmp_gt_i64_e64 s24, s[20:21], 0
	s_lshl_b64 s[4:5], s[8:9], 3
	s_add_nc_u64 s[8:9], s[12:13], s[6:7]
	s_lshl_b64 s[6:7], s[10:11], 3
	s_mul_u64 s[10:11], s[2:3], s[22:23]
	s_mov_b32 s25, 0
	v_cndmask_b32_e64 v44, 0, 1, s24
	v_lshlrev_b64_e32 v[28:29], 3, v[14:15]
	v_mov_b64_e32 v[14:15], 0xfff0000000000000
	s_delay_alu instid0(VALU_DEP_2) | instskip(NEXT) | instid1(VALU_DEP_1)
	v_lshl_add_u64 v[24:25], v[24:25], 3, v[28:29]
	v_lshl_add_u64 v[24:25], v[26:27], 3, v[24:25]
	v_mov_b64_e32 v[26:27], v[8:9]
	s_delay_alu instid0(VALU_DEP_2)
	v_add_nc_u64_e32 v[24:25], s[8:9], v[24:25]
	s_lshl_b64 s[8:9], s[26:27], 3
	s_branch .LBB4_23
.LBB4_21:                               ;   in Loop: Header=BB4_23 Depth=1
	s_or_b32 exec_lo, exec_lo, s26
	v_mov_b64_e32 v[14:15], v[38:39]
	v_mov_b64_e32 v[26:27], v[36:37]
.LBB4_22:                               ;   in Loop: Header=BB4_23 Depth=1
	v_add_nc_u64_e32 v[6:7], 1, v[6:7]
	v_add_nc_u64_e32 v[8:9], s[10:11], v[8:9]
	;; [unrolled: 1-line block ×4, first 2 shown]
	s_delay_alu instid0(VALU_DEP_4) | instskip(SKIP_1) | instid1(SALU_CYCLE_1)
	v_cmp_ge_i64_e32 vcc_lo, v[6:7], v[18:19]
	s_or_b32 s25, vcc_lo, s25
	s_and_not1_b32 exec_lo, exec_lo, s25
	s_cbranch_execz .LBB4_36
.LBB4_23:                               ; =>This Loop Header: Depth=1
                                        ;     Child Loop BB4_27 Depth 2
                                        ;       Child Loop BB4_29 Depth 3
                                        ;       Child Loop BB4_34 Depth 3
	s_and_not1_b32 vcc_lo, exec_lo, s14
	s_cbranch_vccnz .LBB4_22
; %bb.24:                               ;   in Loop: Header=BB4_23 Depth=1
	s_delay_alu instid0(VALU_DEP_1)
	v_mov_b64_e32 v[28:29], v[24:25]
	v_mov_b64_e32 v[30:31], v[16:17]
	v_mov_b64_e32 v[32:33], v[8:9]
	v_mov_b64_e32 v[34:35], v[10:11]
	s_mov_b32 s26, 0
	s_branch .LBB4_27
.LBB4_25:                               ;   in Loop: Header=BB4_27 Depth=2
	v_mov_b64_e32 v[36:37], v[26:27]
	v_mov_b64_e32 v[38:39], v[14:15]
.LBB4_26:                               ;   in Loop: Header=BB4_27 Depth=2
	v_add_nc_u64_e32 v[34:35], 1, v[34:35]
	v_add_nc_u64_e32 v[28:29], s[6:7], v[28:29]
	;; [unrolled: 1-line block ×4, first 2 shown]
	v_mov_b64_e32 v[14:15], v[38:39]
	v_mov_b64_e32 v[26:27], v[36:37]
	v_cmp_ge_i64_e32 vcc_lo, v[34:35], v[20:21]
	s_or_b32 s26, vcc_lo, s26
	s_delay_alu instid0(SALU_CYCLE_1)
	s_and_not1_b32 exec_lo, exec_lo, s26
	s_cbranch_execz .LBB4_21
.LBB4_27:                               ;   Parent Loop BB4_23 Depth=1
                                        ; =>  This Loop Header: Depth=2
                                        ;       Child Loop BB4_29 Depth 3
                                        ;       Child Loop BB4_34 Depth 3
	v_cmp_ne_u32_e64 s2, 1, v44
	s_and_not1_b32 vcc_lo, exec_lo, s15
	s_mov_b32 s3, -1
                                        ; implicit-def: $vgpr38_vgpr39
                                        ; implicit-def: $vgpr36_vgpr37
	s_cbranch_vccnz .LBB4_31
; %bb.28:                               ;   in Loop: Header=BB4_27 Depth=2
	v_mov_b64_e32 v[38:39], v[14:15]
	v_mov_b64_e32 v[36:37], v[26:27]
	;; [unrolled: 1-line block ×4, first 2 shown]
	s_and_b32 vcc_lo, exec_lo, s2
	s_mov_b64 s[12:13], s[20:21]
	s_cbranch_vccnz .LBB4_30
.LBB4_29:                               ;   Parent Loop BB4_23 Depth=1
                                        ;     Parent Loop BB4_27 Depth=2
                                        ; =>    This Inner Loop Header: Depth=3
	global_load_b64 v[46:47], v[42:43], off
	s_wait_xcnt 0x0
	v_add_nc_u64_e32 v[42:43], s[8:9], v[42:43]
	s_add_nc_u64 s[12:13], s[12:13], -1
	s_wait_loadcnt 0x0
	v_cmp_gt_f64_e32 vcc_lo, v[46:47], v[38:39]
	v_cmp_u_f64_e64 s2, v[46:47], v[46:47]
	s_or_b32 vcc_lo, vcc_lo, s2
	s_cmp_lg_u64 s[12:13], 0
	v_dual_cndmask_b32 v37, v37, v41 :: v_dual_cndmask_b32 v36, v36, v40
	v_add_nc_u64_e32 v[40:41], 1, v[40:41]
	v_dual_cndmask_b32 v39, v39, v47 :: v_dual_cndmask_b32 v38, v38, v46
	s_cbranch_scc1 .LBB4_29
.LBB4_30:                               ;   in Loop: Header=BB4_27 Depth=2
	s_mov_b32 s3, 0
.LBB4_31:                               ;   in Loop: Header=BB4_27 Depth=2
	s_delay_alu instid0(SALU_CYCLE_1)
	s_and_not1_b32 vcc_lo, exec_lo, s3
	s_cbranch_vccnz .LBB4_26
; %bb.32:                               ;   in Loop: Header=BB4_27 Depth=2
	s_and_not1_b32 vcc_lo, exec_lo, s24
	s_cbranch_vccnz .LBB4_25
; %bb.33:                               ;   in Loop: Header=BB4_27 Depth=2
	v_mov_b64_e32 v[36:37], v[28:29]
	v_mov_b64_e32 v[38:39], v[12:13]
	s_mov_b32 s12, 0
.LBB4_34:                               ;   Parent Loop BB4_23 Depth=1
                                        ;     Parent Loop BB4_27 Depth=2
                                        ; =>    This Inner Loop Header: Depth=3
	global_load_b64 v[40:41], v[36:37], off
	v_add_nc_u64_e32 v[42:43], v[30:31], v[38:39]
	v_add_nc_u64_e32 v[38:39], 1, v[38:39]
	s_wait_xcnt 0x0
	v_add_nc_u64_e32 v[36:37], s[8:9], v[36:37]
	s_delay_alu instid0(VALU_DEP_2)
	v_cmp_ge_i64_e64 s3, v[38:39], v[22:23]
	s_wait_loadcnt 0x0
	v_cmp_gt_f64_e32 vcc_lo, v[40:41], v[14:15]
	v_cmp_u_f64_e64 s2, v[40:41], v[40:41]
	s_or_b32 vcc_lo, vcc_lo, s2
	s_or_b32 s12, s3, s12
	v_dual_cndmask_b32 v27, v27, v43 :: v_dual_cndmask_b32 v26, v26, v42
	v_dual_cndmask_b32 v15, v15, v41 :: v_dual_cndmask_b32 v14, v14, v40
	s_and_not1_b32 exec_lo, exec_lo, s12
	s_cbranch_execnz .LBB4_34
; %bb.35:                               ;   in Loop: Header=BB4_27 Depth=2
	s_or_b32 exec_lo, exec_lo, s12
	s_branch .LBB4_25
.LBB4_36:
	s_or_b32 exec_lo, exec_lo, s25
	v_mov_b64_e32 v[8:9], v[26:27]
	s_branch .LBB4_38
.LBB4_37:
	v_mov_b64_e32 v[14:15], 0xfff0000000000000
.LBB4_38:
	s_clause 0x3
	s_load_b256 s[4:11], s[0:1], 0xe0
	s_load_b256 s[20:27], s[0:1], 0x88
	s_load_b64 s[2:3], s[0:1], 0x100
	s_load_b128 s[12:15], s[0:1], 0xa8
	s_wait_kmcnt 0x0
	v_mul_u64_e32 v[6:7], s[8:9], v[0:1]
	v_mul_u64_e32 v[0:1], s[24:25], v[0:1]
	;; [unrolled: 1-line block ×4, first 2 shown]
	s_load_b64 s[0:1], s[0:1], 0x58
	v_mul_u64_e32 v[12:13], s[2:3], v[2:3]
	v_mul_u64_e32 v[2:3], s[12:13], v[2:3]
	s_mul_u64 s[2:3], s[4:5], s[18:19]
	s_mul_u64 s[4:5], s[6:7], s[16:17]
	;; [unrolled: 1-line block ×3, first 2 shown]
	s_lshl_b64 s[2:3], s[2:3], 3
	s_mul_u64 s[8:9], s[22:23], s[16:17]
	s_lshl_b64 s[6:7], s[6:7], 3
	s_lshl_b64 s[4:5], s[4:5], 3
	s_add_nc_u64 s[2:3], s[14:15], s[2:3]
	s_lshl_b64 s[8:9], s[8:9], 3
	s_add_nc_u64 s[2:3], s[2:3], s[4:5]
	s_wait_kmcnt 0x0
	s_add_nc_u64 s[0:1], s[0:1], s[6:7]
	s_delay_alu instid0(SALU_CYCLE_1) | instskip(SKIP_2) | instid1(VALU_DEP_2)
	s_add_nc_u64 s[0:1], s[0:1], s[8:9]
	v_lshl_add_u64 v[6:7], v[6:7], 3, s[2:3]
	v_lshl_add_u64 v[0:1], v[0:1], 3, s[0:1]
	;; [unrolled: 1-line block ×3, first 2 shown]
	s_delay_alu instid0(VALU_DEP_2) | instskip(NEXT) | instid1(VALU_DEP_2)
	v_lshl_add_u64 v[0:1], v[4:5], 3, v[0:1]
	v_lshl_add_u64 v[4:5], v[12:13], 3, v[6:7]
	s_delay_alu instid0(VALU_DEP_2)
	v_lshl_add_u64 v[0:1], v[2:3], 3, v[0:1]
	global_store_b64 v[4:5], v[8:9], off
	global_store_b64 v[0:1], v[14:15], off
.LBB4_39:
	s_endpgm
	.section	.rodata,"a",@progbits
	.p2align	6, 0x0
	.amdhsa_kernel _ZN2at6native12_GLOBAL__N_131fractional_max_pool3d_out_frameIdEEvN5torch10headeronly6detail27GenericPackedTensorAccessorINS5_14TensorAccessorIN3c108ArrayRefIlEEKT_Lm4ENS4_16DefaultPtrTraitsElEENS_6detail16IndexBoundsCheckILm5ElEESC_Lm5ESD_lEENS6_INS7_ISA_SB_Lm4ESD_lEESH_SB_Lm5ESD_lEENS6_INS7_ISA_lLm4ESD_lEESH_lLm5ESD_lEENS6_INS7_ISA_SC_Lm2ESD_lEENSG_ILm3ElEESC_Lm3ESD_lEElll
		.amdhsa_group_segment_fixed_size 0
		.amdhsa_private_segment_fixed_size 0
		.amdhsa_kernarg_size 600
		.amdhsa_user_sgpr_count 2
		.amdhsa_user_sgpr_dispatch_ptr 0
		.amdhsa_user_sgpr_queue_ptr 0
		.amdhsa_user_sgpr_kernarg_segment_ptr 1
		.amdhsa_user_sgpr_dispatch_id 0
		.amdhsa_user_sgpr_kernarg_preload_length 0
		.amdhsa_user_sgpr_kernarg_preload_offset 0
		.amdhsa_user_sgpr_private_segment_size 0
		.amdhsa_wavefront_size32 1
		.amdhsa_uses_dynamic_stack 0
		.amdhsa_enable_private_segment 0
		.amdhsa_system_sgpr_workgroup_id_x 1
		.amdhsa_system_sgpr_workgroup_id_y 1
		.amdhsa_system_sgpr_workgroup_id_z 1
		.amdhsa_system_sgpr_workgroup_info 0
		.amdhsa_system_vgpr_workitem_id 0
		.amdhsa_next_free_vgpr 48
		.amdhsa_next_free_sgpr 30
		.amdhsa_named_barrier_count 0
		.amdhsa_reserve_vcc 1
		.amdhsa_float_round_mode_32 0
		.amdhsa_float_round_mode_16_64 0
		.amdhsa_float_denorm_mode_32 3
		.amdhsa_float_denorm_mode_16_64 3
		.amdhsa_fp16_overflow 0
		.amdhsa_memory_ordered 1
		.amdhsa_forward_progress 1
		.amdhsa_inst_pref_size 36
		.amdhsa_round_robin_scheduling 0
		.amdhsa_exception_fp_ieee_invalid_op 0
		.amdhsa_exception_fp_denorm_src 0
		.amdhsa_exception_fp_ieee_div_zero 0
		.amdhsa_exception_fp_ieee_overflow 0
		.amdhsa_exception_fp_ieee_underflow 0
		.amdhsa_exception_fp_ieee_inexact 0
		.amdhsa_exception_int_div_zero 0
	.end_amdhsa_kernel
	.section	.text._ZN2at6native12_GLOBAL__N_131fractional_max_pool3d_out_frameIdEEvN5torch10headeronly6detail27GenericPackedTensorAccessorINS5_14TensorAccessorIN3c108ArrayRefIlEEKT_Lm4ENS4_16DefaultPtrTraitsElEENS_6detail16IndexBoundsCheckILm5ElEESC_Lm5ESD_lEENS6_INS7_ISA_SB_Lm4ESD_lEESH_SB_Lm5ESD_lEENS6_INS7_ISA_lLm4ESD_lEESH_lLm5ESD_lEENS6_INS7_ISA_SC_Lm2ESD_lEENSG_ILm3ElEESC_Lm3ESD_lEElll,"axG",@progbits,_ZN2at6native12_GLOBAL__N_131fractional_max_pool3d_out_frameIdEEvN5torch10headeronly6detail27GenericPackedTensorAccessorINS5_14TensorAccessorIN3c108ArrayRefIlEEKT_Lm4ENS4_16DefaultPtrTraitsElEENS_6detail16IndexBoundsCheckILm5ElEESC_Lm5ESD_lEENS6_INS7_ISA_SB_Lm4ESD_lEESH_SB_Lm5ESD_lEENS6_INS7_ISA_lLm4ESD_lEESH_lLm5ESD_lEENS6_INS7_ISA_SC_Lm2ESD_lEENSG_ILm3ElEESC_Lm3ESD_lEElll,comdat
.Lfunc_end4:
	.size	_ZN2at6native12_GLOBAL__N_131fractional_max_pool3d_out_frameIdEEvN5torch10headeronly6detail27GenericPackedTensorAccessorINS5_14TensorAccessorIN3c108ArrayRefIlEEKT_Lm4ENS4_16DefaultPtrTraitsElEENS_6detail16IndexBoundsCheckILm5ElEESC_Lm5ESD_lEENS6_INS7_ISA_SB_Lm4ESD_lEESH_SB_Lm5ESD_lEENS6_INS7_ISA_lLm4ESD_lEESH_lLm5ESD_lEENS6_INS7_ISA_SC_Lm2ESD_lEENSG_ILm3ElEESC_Lm3ESD_lEElll, .Lfunc_end4-_ZN2at6native12_GLOBAL__N_131fractional_max_pool3d_out_frameIdEEvN5torch10headeronly6detail27GenericPackedTensorAccessorINS5_14TensorAccessorIN3c108ArrayRefIlEEKT_Lm4ENS4_16DefaultPtrTraitsElEENS_6detail16IndexBoundsCheckILm5ElEESC_Lm5ESD_lEENS6_INS7_ISA_SB_Lm4ESD_lEESH_SB_Lm5ESD_lEENS6_INS7_ISA_lLm4ESD_lEESH_lLm5ESD_lEENS6_INS7_ISA_SC_Lm2ESD_lEENSG_ILm3ElEESC_Lm3ESD_lEElll
                                        ; -- End function
	.set _ZN2at6native12_GLOBAL__N_131fractional_max_pool3d_out_frameIdEEvN5torch10headeronly6detail27GenericPackedTensorAccessorINS5_14TensorAccessorIN3c108ArrayRefIlEEKT_Lm4ENS4_16DefaultPtrTraitsElEENS_6detail16IndexBoundsCheckILm5ElEESC_Lm5ESD_lEENS6_INS7_ISA_SB_Lm4ESD_lEESH_SB_Lm5ESD_lEENS6_INS7_ISA_lLm4ESD_lEESH_lLm5ESD_lEENS6_INS7_ISA_SC_Lm2ESD_lEENSG_ILm3ElEESC_Lm3ESD_lEElll.num_vgpr, 48
	.set _ZN2at6native12_GLOBAL__N_131fractional_max_pool3d_out_frameIdEEvN5torch10headeronly6detail27GenericPackedTensorAccessorINS5_14TensorAccessorIN3c108ArrayRefIlEEKT_Lm4ENS4_16DefaultPtrTraitsElEENS_6detail16IndexBoundsCheckILm5ElEESC_Lm5ESD_lEENS6_INS7_ISA_SB_Lm4ESD_lEESH_SB_Lm5ESD_lEENS6_INS7_ISA_lLm4ESD_lEESH_lLm5ESD_lEENS6_INS7_ISA_SC_Lm2ESD_lEENSG_ILm3ElEESC_Lm3ESD_lEElll.num_agpr, 0
	.set _ZN2at6native12_GLOBAL__N_131fractional_max_pool3d_out_frameIdEEvN5torch10headeronly6detail27GenericPackedTensorAccessorINS5_14TensorAccessorIN3c108ArrayRefIlEEKT_Lm4ENS4_16DefaultPtrTraitsElEENS_6detail16IndexBoundsCheckILm5ElEESC_Lm5ESD_lEENS6_INS7_ISA_SB_Lm4ESD_lEESH_SB_Lm5ESD_lEENS6_INS7_ISA_lLm4ESD_lEESH_lLm5ESD_lEENS6_INS7_ISA_SC_Lm2ESD_lEENSG_ILm3ElEESC_Lm3ESD_lEElll.numbered_sgpr, 30
	.set _ZN2at6native12_GLOBAL__N_131fractional_max_pool3d_out_frameIdEEvN5torch10headeronly6detail27GenericPackedTensorAccessorINS5_14TensorAccessorIN3c108ArrayRefIlEEKT_Lm4ENS4_16DefaultPtrTraitsElEENS_6detail16IndexBoundsCheckILm5ElEESC_Lm5ESD_lEENS6_INS7_ISA_SB_Lm4ESD_lEESH_SB_Lm5ESD_lEENS6_INS7_ISA_lLm4ESD_lEESH_lLm5ESD_lEENS6_INS7_ISA_SC_Lm2ESD_lEENSG_ILm3ElEESC_Lm3ESD_lEElll.num_named_barrier, 0
	.set _ZN2at6native12_GLOBAL__N_131fractional_max_pool3d_out_frameIdEEvN5torch10headeronly6detail27GenericPackedTensorAccessorINS5_14TensorAccessorIN3c108ArrayRefIlEEKT_Lm4ENS4_16DefaultPtrTraitsElEENS_6detail16IndexBoundsCheckILm5ElEESC_Lm5ESD_lEENS6_INS7_ISA_SB_Lm4ESD_lEESH_SB_Lm5ESD_lEENS6_INS7_ISA_lLm4ESD_lEESH_lLm5ESD_lEENS6_INS7_ISA_SC_Lm2ESD_lEENSG_ILm3ElEESC_Lm3ESD_lEElll.private_seg_size, 0
	.set _ZN2at6native12_GLOBAL__N_131fractional_max_pool3d_out_frameIdEEvN5torch10headeronly6detail27GenericPackedTensorAccessorINS5_14TensorAccessorIN3c108ArrayRefIlEEKT_Lm4ENS4_16DefaultPtrTraitsElEENS_6detail16IndexBoundsCheckILm5ElEESC_Lm5ESD_lEENS6_INS7_ISA_SB_Lm4ESD_lEESH_SB_Lm5ESD_lEENS6_INS7_ISA_lLm4ESD_lEESH_lLm5ESD_lEENS6_INS7_ISA_SC_Lm2ESD_lEENSG_ILm3ElEESC_Lm3ESD_lEElll.uses_vcc, 1
	.set _ZN2at6native12_GLOBAL__N_131fractional_max_pool3d_out_frameIdEEvN5torch10headeronly6detail27GenericPackedTensorAccessorINS5_14TensorAccessorIN3c108ArrayRefIlEEKT_Lm4ENS4_16DefaultPtrTraitsElEENS_6detail16IndexBoundsCheckILm5ElEESC_Lm5ESD_lEENS6_INS7_ISA_SB_Lm4ESD_lEESH_SB_Lm5ESD_lEENS6_INS7_ISA_lLm4ESD_lEESH_lLm5ESD_lEENS6_INS7_ISA_SC_Lm2ESD_lEENSG_ILm3ElEESC_Lm3ESD_lEElll.uses_flat_scratch, 0
	.set _ZN2at6native12_GLOBAL__N_131fractional_max_pool3d_out_frameIdEEvN5torch10headeronly6detail27GenericPackedTensorAccessorINS5_14TensorAccessorIN3c108ArrayRefIlEEKT_Lm4ENS4_16DefaultPtrTraitsElEENS_6detail16IndexBoundsCheckILm5ElEESC_Lm5ESD_lEENS6_INS7_ISA_SB_Lm4ESD_lEESH_SB_Lm5ESD_lEENS6_INS7_ISA_lLm4ESD_lEESH_lLm5ESD_lEENS6_INS7_ISA_SC_Lm2ESD_lEENSG_ILm3ElEESC_Lm3ESD_lEElll.has_dyn_sized_stack, 0
	.set _ZN2at6native12_GLOBAL__N_131fractional_max_pool3d_out_frameIdEEvN5torch10headeronly6detail27GenericPackedTensorAccessorINS5_14TensorAccessorIN3c108ArrayRefIlEEKT_Lm4ENS4_16DefaultPtrTraitsElEENS_6detail16IndexBoundsCheckILm5ElEESC_Lm5ESD_lEENS6_INS7_ISA_SB_Lm4ESD_lEESH_SB_Lm5ESD_lEENS6_INS7_ISA_lLm4ESD_lEESH_lLm5ESD_lEENS6_INS7_ISA_SC_Lm2ESD_lEENSG_ILm3ElEESC_Lm3ESD_lEElll.has_recursion, 0
	.set _ZN2at6native12_GLOBAL__N_131fractional_max_pool3d_out_frameIdEEvN5torch10headeronly6detail27GenericPackedTensorAccessorINS5_14TensorAccessorIN3c108ArrayRefIlEEKT_Lm4ENS4_16DefaultPtrTraitsElEENS_6detail16IndexBoundsCheckILm5ElEESC_Lm5ESD_lEENS6_INS7_ISA_SB_Lm4ESD_lEESH_SB_Lm5ESD_lEENS6_INS7_ISA_lLm4ESD_lEESH_lLm5ESD_lEENS6_INS7_ISA_SC_Lm2ESD_lEENSG_ILm3ElEESC_Lm3ESD_lEElll.has_indirect_call, 0
	.section	.AMDGPU.csdata,"",@progbits
; Kernel info:
; codeLenInByte = 4484
; TotalNumSgprs: 32
; NumVgprs: 48
; ScratchSize: 0
; MemoryBound: 0
; FloatMode: 240
; IeeeMode: 1
; LDSByteSize: 0 bytes/workgroup (compile time only)
; SGPRBlocks: 0
; VGPRBlocks: 2
; NumSGPRsForWavesPerEU: 32
; NumVGPRsForWavesPerEU: 48
; NamedBarCnt: 0
; Occupancy: 16
; WaveLimiterHint : 1
; COMPUTE_PGM_RSRC2:SCRATCH_EN: 0
; COMPUTE_PGM_RSRC2:USER_SGPR: 2
; COMPUTE_PGM_RSRC2:TRAP_HANDLER: 0
; COMPUTE_PGM_RSRC2:TGID_X_EN: 1
; COMPUTE_PGM_RSRC2:TGID_Y_EN: 1
; COMPUTE_PGM_RSRC2:TGID_Z_EN: 1
; COMPUTE_PGM_RSRC2:TIDIG_COMP_CNT: 0
	.section	.text._ZN2at6native12_GLOBAL__N_131fractional_max_pool3d_out_frameIfEEvN5torch10headeronly6detail27GenericPackedTensorAccessorINS5_14TensorAccessorIN3c108ArrayRefIlEEKT_Lm4ENS4_16DefaultPtrTraitsElEENS_6detail16IndexBoundsCheckILm5ElEESC_Lm5ESD_lEENS6_INS7_ISA_SB_Lm4ESD_lEESH_SB_Lm5ESD_lEENS6_INS7_ISA_lLm4ESD_lEESH_lLm5ESD_lEENS6_INS7_ISA_SC_Lm2ESD_lEENSG_ILm3ElEESC_Lm3ESD_lEElll,"axG",@progbits,_ZN2at6native12_GLOBAL__N_131fractional_max_pool3d_out_frameIfEEvN5torch10headeronly6detail27GenericPackedTensorAccessorINS5_14TensorAccessorIN3c108ArrayRefIlEEKT_Lm4ENS4_16DefaultPtrTraitsElEENS_6detail16IndexBoundsCheckILm5ElEESC_Lm5ESD_lEENS6_INS7_ISA_SB_Lm4ESD_lEESH_SB_Lm5ESD_lEENS6_INS7_ISA_lLm4ESD_lEESH_lLm5ESD_lEENS6_INS7_ISA_SC_Lm2ESD_lEENSG_ILm3ElEESC_Lm3ESD_lEElll,comdat
	.globl	_ZN2at6native12_GLOBAL__N_131fractional_max_pool3d_out_frameIfEEvN5torch10headeronly6detail27GenericPackedTensorAccessorINS5_14TensorAccessorIN3c108ArrayRefIlEEKT_Lm4ENS4_16DefaultPtrTraitsElEENS_6detail16IndexBoundsCheckILm5ElEESC_Lm5ESD_lEENS6_INS7_ISA_SB_Lm4ESD_lEESH_SB_Lm5ESD_lEENS6_INS7_ISA_lLm4ESD_lEESH_lLm5ESD_lEENS6_INS7_ISA_SC_Lm2ESD_lEENSG_ILm3ElEESC_Lm3ESD_lEElll ; -- Begin function _ZN2at6native12_GLOBAL__N_131fractional_max_pool3d_out_frameIfEEvN5torch10headeronly6detail27GenericPackedTensorAccessorINS5_14TensorAccessorIN3c108ArrayRefIlEEKT_Lm4ENS4_16DefaultPtrTraitsElEENS_6detail16IndexBoundsCheckILm5ElEESC_Lm5ESD_lEENS6_INS7_ISA_SB_Lm4ESD_lEESH_SB_Lm5ESD_lEENS6_INS7_ISA_lLm4ESD_lEESH_lLm5ESD_lEENS6_INS7_ISA_SC_Lm2ESD_lEENSG_ILm3ElEESC_Lm3ESD_lEElll
	.p2align	8
	.type	_ZN2at6native12_GLOBAL__N_131fractional_max_pool3d_out_frameIfEEvN5torch10headeronly6detail27GenericPackedTensorAccessorINS5_14TensorAccessorIN3c108ArrayRefIlEEKT_Lm4ENS4_16DefaultPtrTraitsElEENS_6detail16IndexBoundsCheckILm5ElEESC_Lm5ESD_lEENS6_INS7_ISA_SB_Lm4ESD_lEESH_SB_Lm5ESD_lEENS6_INS7_ISA_lLm4ESD_lEESH_lLm5ESD_lEENS6_INS7_ISA_SC_Lm2ESD_lEENSG_ILm3ElEESC_Lm3ESD_lEElll,@function
_ZN2at6native12_GLOBAL__N_131fractional_max_pool3d_out_frameIfEEvN5torch10headeronly6detail27GenericPackedTensorAccessorINS5_14TensorAccessorIN3c108ArrayRefIlEEKT_Lm4ENS4_16DefaultPtrTraitsElEENS_6detail16IndexBoundsCheckILm5ElEESC_Lm5ESD_lEENS6_INS7_ISA_SB_Lm4ESD_lEESH_SB_Lm5ESD_lEENS6_INS7_ISA_lLm4ESD_lEESH_lLm5ESD_lEENS6_INS7_ISA_SC_Lm2ESD_lEENSG_ILm3ElEESC_Lm3ESD_lEElll: ; @_ZN2at6native12_GLOBAL__N_131fractional_max_pool3d_out_frameIfEEvN5torch10headeronly6detail27GenericPackedTensorAccessorINS5_14TensorAccessorIN3c108ArrayRefIlEEKT_Lm4ENS4_16DefaultPtrTraitsElEENS_6detail16IndexBoundsCheckILm5ElEESC_Lm5ESD_lEENS6_INS7_ISA_SB_Lm4ESD_lEESH_SB_Lm5ESD_lEENS6_INS7_ISA_lLm4ESD_lEESH_lLm5ESD_lEENS6_INS7_ISA_SC_Lm2ESD_lEENSG_ILm3ElEESC_Lm3ESD_lEElll
; %bb.0:
	s_clause 0x2
	s_load_b32 s2, s[0:1], 0x164
	s_load_b128 s[4:7], s[0:1], 0x70
	s_load_b64 s[8:9], s[0:1], 0x80
	s_bfe_u32 s3, ttmp6, 0x4000c
	v_mov_b32_e32 v4, 0
	s_add_co_i32 s11, s3, 1
	s_and_b32 s10, ttmp6, 15
	s_mul_i32 s11, ttmp9, s11
	s_getreg_b32 s3, hwreg(HW_REG_IB_STS2, 6, 4)
	v_mov_b32_e32 v1, v4
	s_add_co_i32 s10, s10, s11
	s_wait_kmcnt 0x0
	s_and_b32 s2, s2, 0xffff
	s_cmp_eq_u32 s3, 0
	s_cselect_b32 s10, ttmp9, s10
	s_delay_alu instid0(SALU_CYCLE_1)
	v_mad_nc_u64_u32 v[2:3], s2, s10, v[0:1]
	s_mul_u64 s[10:11], s[8:9], s[6:7]
	s_mov_b32 s2, exec_lo
	s_mul_u64 s[12:13], s[10:11], s[4:5]
	s_delay_alu instid0(VALU_DEP_1) | instid1(SALU_CYCLE_1)
	v_cmpx_gt_i64_e64 s[12:13], v[2:3]
	s_cbranch_execz .LBB5_39
; %bb.1:
	v_or_b32_e32 v5, s11, v3
                                        ; implicit-def: $vgpr0_vgpr1
	s_delay_alu instid0(VALU_DEP_1) | instskip(SKIP_2) | instid1(SALU_CYCLE_1)
	v_cmp_ne_u64_e32 vcc_lo, 0, v[4:5]
	v_ashrrev_i32_e32 v4, 31, v3
	s_and_saveexec_b32 s2, vcc_lo
	s_xor_b32 s16, exec_lo, s2
	s_cbranch_execz .LBB5_3
; %bb.2:
	s_ashr_i32 s12, s11, 31
	s_mov_b32 s25, 0
	s_mov_b32 s13, s12
	v_dual_mov_b32 v5, v4 :: v_dual_mov_b32 v7, 0
	s_add_nc_u64 s[14:15], s[10:11], s[12:13]
	s_delay_alu instid0(SALU_CYCLE_1) | instskip(NEXT) | instid1(VALU_DEP_1)
	s_xor_b64 s[14:15], s[14:15], s[12:13]
	v_add_nc_u64_e32 v[0:1], v[2:3], v[4:5]
	s_cvt_f32_u32 s2, s14
	s_cvt_f32_u32 s11, s15
	s_sub_nc_u64 s[20:21], 0, s[14:15]
	v_dual_mov_b32 v9, v7 :: v_dual_mov_b32 v15, v7
	s_delay_alu instid0(SALU_CYCLE_1) | instskip(NEXT) | instid1(VALU_DEP_2)
	s_fmamk_f32 s2, s11, 0x4f800000, s2
	v_xor_b32_e32 v6, v0, v4
	v_xor_b32_e32 v8, v1, v4
	s_delay_alu instid0(SALU_CYCLE_1) | instskip(NEXT) | instid1(TRANS32_DEP_1)
	v_s_rcp_f32 s2, s2
	s_mul_f32 s2, s2, 0x5f7ffffc
	s_delay_alu instid0(SALU_CYCLE_3) | instskip(NEXT) | instid1(SALU_CYCLE_3)
	s_mul_f32 s11, s2, 0x2f800000
	s_trunc_f32 s11, s11
	s_delay_alu instid0(SALU_CYCLE_3) | instskip(SKIP_1) | instid1(SALU_CYCLE_2)
	s_fmamk_f32 s2, s11, 0xcf800000, s2
	s_cvt_u32_f32 s19, s11
	s_cvt_u32_f32 s18, s2
	s_delay_alu instid0(SALU_CYCLE_3) | instskip(NEXT) | instid1(SALU_CYCLE_1)
	s_mul_u64 s[22:23], s[20:21], s[18:19]
	s_mul_hi_u32 s27, s18, s23
	s_mul_i32 s26, s18, s23
	s_mul_hi_u32 s24, s18, s22
	s_mul_i32 s11, s19, s22
	s_add_nc_u64 s[26:27], s[24:25], s[26:27]
	s_mul_hi_u32 s2, s19, s22
	s_mul_hi_u32 s13, s19, s23
	s_add_co_u32 s11, s26, s11
	s_add_co_ci_u32 s24, s27, s2
	s_mul_i32 s22, s19, s23
	s_add_co_ci_u32 s23, s13, 0
	s_delay_alu instid0(SALU_CYCLE_1) | instskip(NEXT) | instid1(SALU_CYCLE_1)
	s_add_nc_u64 s[22:23], s[24:25], s[22:23]
	s_add_co_u32 s18, s18, s22
	s_cselect_b32 s2, -1, 0
	s_delay_alu instid0(SALU_CYCLE_1) | instskip(SKIP_1) | instid1(SALU_CYCLE_1)
	s_cmp_lg_u32 s2, 0
	s_add_co_ci_u32 s19, s19, s23
	s_mul_u64 s[20:21], s[20:21], s[18:19]
	s_delay_alu instid0(SALU_CYCLE_1)
	s_mul_hi_u32 s23, s18, s21
	s_mul_i32 s22, s18, s21
	s_mul_hi_u32 s24, s18, s20
	s_mul_i32 s11, s19, s20
	s_add_nc_u64 s[22:23], s[24:25], s[22:23]
	s_mul_hi_u32 s2, s19, s20
	s_mul_hi_u32 s13, s19, s21
	s_add_co_u32 s11, s22, s11
	s_add_co_ci_u32 s24, s23, s2
	s_mul_i32 s20, s19, s21
	s_add_co_ci_u32 s21, s13, 0
	s_delay_alu instid0(SALU_CYCLE_1) | instskip(NEXT) | instid1(SALU_CYCLE_1)
	s_add_nc_u64 s[20:21], s[24:25], s[20:21]
	s_add_co_u32 s2, s18, s20
	s_cselect_b32 s11, -1, 0
	v_nop
	v_mul_hi_u32 v14, v6, s2
	s_cmp_lg_u32 s11, 0
	s_add_co_ci_u32 s24, s19, s21
	s_mov_b64 s[18:19], 0xffffffff
	v_mul_u64_e32 v[10:11], s[24:25], v[6:7]
	s_and_b64 s[18:19], s[2:3], s[18:19]
	v_mul_u64_e32 v[12:13], s[24:25], v[8:9]
	v_mul_u64_e32 v[0:1], s[18:19], v[8:9]
	s_delay_alu instid0(VALU_DEP_3) | instskip(NEXT) | instid1(VALU_DEP_1)
	v_add_nc_u64_e32 v[10:11], v[14:15], v[10:11]
	v_add_co_u32 v0, vcc_lo, v10, v0
	s_delay_alu instid0(VALU_DEP_2) | instskip(SKIP_1) | instid1(VALU_DEP_1)
	v_add_co_ci_u32_e32 v14, vcc_lo, v11, v1, vcc_lo
	v_add_co_ci_u32_e32 v13, vcc_lo, 0, v13, vcc_lo
	v_add_nc_u64_e32 v[0:1], v[14:15], v[12:13]
	s_delay_alu instid0(VALU_DEP_1) | instskip(NEXT) | instid1(VALU_DEP_1)
	v_mul_u64_e32 v[10:11], s[14:15], v[0:1]
	v_sub_nc_u32_e32 v5, v8, v11
	s_delay_alu instid0(VALU_DEP_2) | instskip(NEXT) | instid1(VALU_DEP_1)
	v_sub_co_u32 v6, vcc_lo, v6, v10
	v_sub_co_ci_u32_e64 v10, null, v8, v11, vcc_lo
	s_delay_alu instid0(VALU_DEP_3) | instskip(NEXT) | instid1(VALU_DEP_3)
	v_subrev_co_ci_u32_e64 v5, null, s15, v5, vcc_lo
	v_sub_co_u32 v7, s2, v6, s14
	s_delay_alu instid0(VALU_DEP_1) | instskip(NEXT) | instid1(VALU_DEP_2)
	v_subrev_co_ci_u32_e64 v5, null, 0, v5, s2
	v_cmp_le_u32_e32 vcc_lo, s14, v7
	v_cndmask_b32_e64 v7, 0, -1, vcc_lo
	s_delay_alu instid0(VALU_DEP_3)
	v_cmp_le_u32_e32 vcc_lo, s15, v5
	v_cndmask_b32_e64 v8, 0, -1, vcc_lo
	v_cmp_le_u32_e32 vcc_lo, s14, v6
	v_cndmask_b32_e64 v11, 0, -1, vcc_lo
	v_cmp_le_u32_e32 vcc_lo, s15, v10
	v_cndmask_b32_e64 v12, 0, -1, vcc_lo
	v_cmp_eq_u32_e32 vcc_lo, s15, v5
	v_cndmask_b32_e32 v5, v8, v7, vcc_lo
	v_cmp_eq_u32_e32 vcc_lo, s15, v10
	v_add_nc_u64_e32 v[6:7], 2, v[0:1]
	v_add_nc_u64_e32 v[8:9], 1, v[0:1]
	v_cndmask_b32_e32 v10, v12, v11, vcc_lo
	v_cmp_ne_u32_e32 vcc_lo, 0, v5
	s_delay_alu instid0(VALU_DEP_2) | instskip(NEXT) | instid1(VALU_DEP_4)
	v_cmp_ne_u32_e64 s2, 0, v10
	v_dual_cndmask_b32 v5, v9, v7, vcc_lo :: v_dual_cndmask_b32 v7, v8, v6, vcc_lo
	s_delay_alu instid0(VALU_DEP_1) | instskip(NEXT) | instid1(VALU_DEP_1)
	v_dual_cndmask_b32 v0, v0, v7, s2 :: v_dual_bitop2_b32 v6, s12, v4 bitop3:0x14
	v_dual_cndmask_b32 v1, v1, v5, s2 :: v_dual_mov_b32 v7, v6
	s_delay_alu instid0(VALU_DEP_2) | instskip(NEXT) | instid1(VALU_DEP_2)
	v_xor_b32_e32 v0, v0, v6
	v_xor_b32_e32 v1, v1, v6
	s_delay_alu instid0(VALU_DEP_1)
	v_sub_nc_u64_e32 v[0:1], v[0:1], v[6:7]
.LBB5_3:
	s_and_not1_saveexec_b32 s2, s16
	s_cbranch_execz .LBB5_5
; %bb.4:
	v_cvt_f32_u32_e32 v0, s10
	s_sub_co_i32 s11, 0, s10
	s_delay_alu instid0(VALU_DEP_1) | instskip(SKIP_1) | instid1(TRANS32_DEP_1)
	v_rcp_iflag_f32_e32 v0, v0
	v_nop
	v_mul_f32_e32 v0, 0x4f7ffffe, v0
	s_delay_alu instid0(VALU_DEP_1) | instskip(NEXT) | instid1(VALU_DEP_1)
	v_cvt_u32_f32_e32 v0, v0
	v_mul_lo_u32 v1, s11, v0
	s_delay_alu instid0(VALU_DEP_1) | instskip(NEXT) | instid1(VALU_DEP_1)
	v_mul_hi_u32 v1, v0, v1
	v_add_nc_u32_e32 v0, v0, v1
	s_delay_alu instid0(VALU_DEP_1) | instskip(NEXT) | instid1(VALU_DEP_1)
	v_mul_hi_u32 v0, v2, v0
	v_mul_lo_u32 v1, v0, s10
	s_delay_alu instid0(VALU_DEP_1) | instskip(NEXT) | instid1(VALU_DEP_1)
	v_dual_add_nc_u32 v5, 1, v0 :: v_dual_sub_nc_u32 v1, v2, v1
	v_subrev_nc_u32_e32 v6, s10, v1
	v_cmp_le_u32_e32 vcc_lo, s10, v1
	s_delay_alu instid0(VALU_DEP_2) | instskip(NEXT) | instid1(VALU_DEP_1)
	v_dual_cndmask_b32 v1, v1, v6 :: v_dual_cndmask_b32 v0, v0, v5
	v_cmp_le_u32_e32 vcc_lo, s10, v1
	s_delay_alu instid0(VALU_DEP_2) | instskip(NEXT) | instid1(VALU_DEP_1)
	v_dual_add_nc_u32 v5, 1, v0 :: v_dual_mov_b32 v1, 0
	v_cndmask_b32_e32 v0, v0, v5, vcc_lo
.LBB5_5:
	s_or_b32 exec_lo, exec_lo, s2
	v_dual_mov_b32 v8, 0 :: v_dual_bitop2_b32 v9, s9, v3 bitop3:0x54
                                        ; implicit-def: $vgpr6_vgpr7
	s_mov_b32 s2, exec_lo
	s_delay_alu instid0(VALU_DEP_1)
	v_cmpx_ne_u64_e32 0, v[8:9]
	s_xor_b32 s14, exec_lo, s2
	s_cbranch_execz .LBB5_7
; %bb.6:
	s_ashr_i32 s10, s9, 31
	s_mov_b32 s23, 0
	s_mov_b32 s11, s10
	v_dual_mov_b32 v5, v4 :: v_dual_mov_b32 v11, v8
	s_add_nc_u64 s[12:13], s[8:9], s[10:11]
	v_mov_b32_e32 v9, v8
	s_xor_b64 s[12:13], s[12:13], s[10:11]
	s_delay_alu instid0(VALU_DEP_2) | instskip(SKIP_4) | instid1(SALU_CYCLE_1)
	v_add_nc_u64_e32 v[6:7], v[2:3], v[4:5]
	s_cvt_f32_u32 s2, s12
	s_cvt_f32_u32 s11, s13
	s_sub_nc_u64 s[18:19], 0, s[12:13]
	v_dual_mov_b32 v13, v8 :: v_dual_mov_b32 v19, v8
	s_fmamk_f32 s2, s11, 0x4f800000, s2
	s_delay_alu instid0(VALU_DEP_2) | instskip(SKIP_3) | instid1(TRANS32_DEP_1)
	v_xor_b32_e32 v10, v6, v4
	v_xor_b32_e32 v12, v7, v4
	;; [unrolled: 1-line block ×3, first 2 shown]
	v_s_rcp_f32 s2, s2
	s_mul_f32 s2, s2, 0x5f7ffffc
	s_delay_alu instid0(SALU_CYCLE_3) | instskip(NEXT) | instid1(SALU_CYCLE_3)
	s_mul_f32 s11, s2, 0x2f800000
	s_trunc_f32 s11, s11
	s_delay_alu instid0(SALU_CYCLE_3) | instskip(SKIP_1) | instid1(SALU_CYCLE_2)
	s_fmamk_f32 s2, s11, 0xcf800000, s2
	s_cvt_u32_f32 s17, s11
	s_cvt_u32_f32 s16, s2
	s_delay_alu instid0(SALU_CYCLE_3) | instskip(NEXT) | instid1(SALU_CYCLE_1)
	s_mul_u64 s[20:21], s[18:19], s[16:17]
	s_mul_hi_u32 s25, s16, s21
	s_mul_i32 s24, s16, s21
	s_mul_hi_u32 s22, s16, s20
	s_mul_i32 s11, s17, s20
	s_add_nc_u64 s[24:25], s[22:23], s[24:25]
	s_mul_hi_u32 s2, s17, s20
	s_mul_hi_u32 s15, s17, s21
	s_add_co_u32 s11, s24, s11
	s_add_co_ci_u32 s22, s25, s2
	s_mul_i32 s20, s17, s21
	s_add_co_ci_u32 s21, s15, 0
	s_delay_alu instid0(SALU_CYCLE_1) | instskip(NEXT) | instid1(SALU_CYCLE_1)
	s_add_nc_u64 s[20:21], s[22:23], s[20:21]
	s_add_co_u32 s16, s16, s20
	s_cselect_b32 s2, -1, 0
	s_delay_alu instid0(SALU_CYCLE_1) | instskip(SKIP_1) | instid1(SALU_CYCLE_1)
	s_cmp_lg_u32 s2, 0
	s_add_co_ci_u32 s17, s17, s21
	s_mul_u64 s[18:19], s[18:19], s[16:17]
	s_delay_alu instid0(SALU_CYCLE_1)
	s_mul_hi_u32 s21, s16, s19
	s_mul_i32 s20, s16, s19
	s_mul_hi_u32 s22, s16, s18
	s_mul_i32 s11, s17, s18
	s_add_nc_u64 s[20:21], s[22:23], s[20:21]
	s_mul_hi_u32 s2, s17, s18
	s_mul_hi_u32 s15, s17, s19
	s_add_co_u32 s11, s20, s11
	s_add_co_ci_u32 s22, s21, s2
	s_mul_i32 s18, s17, s19
	s_add_co_ci_u32 s19, s15, 0
	s_delay_alu instid0(SALU_CYCLE_1) | instskip(NEXT) | instid1(SALU_CYCLE_1)
	s_add_nc_u64 s[18:19], s[22:23], s[18:19]
	s_add_co_u32 s2, s16, s18
	s_cselect_b32 s11, -1, 0
	v_nop
	v_mul_hi_u32 v18, v10, s2
	s_cmp_lg_u32 s11, 0
	s_add_co_ci_u32 s22, s17, s19
	s_mov_b64 s[16:17], 0xffffffff
	v_mul_u64_e32 v[14:15], s[22:23], v[10:11]
	s_and_b64 s[16:17], s[2:3], s[16:17]
	v_mul_u64_e32 v[16:17], s[22:23], v[12:13]
	v_mul_u64_e32 v[6:7], s[16:17], v[12:13]
	s_delay_alu instid0(VALU_DEP_3) | instskip(NEXT) | instid1(VALU_DEP_1)
	v_add_nc_u64_e32 v[14:15], v[18:19], v[14:15]
	v_add_co_u32 v5, vcc_lo, v14, v6
	s_delay_alu instid0(VALU_DEP_2) | instskip(SKIP_1) | instid1(VALU_DEP_1)
	v_add_co_ci_u32_e32 v8, vcc_lo, v15, v7, vcc_lo
	v_add_co_ci_u32_e32 v17, vcc_lo, 0, v17, vcc_lo
	v_add_nc_u64_e32 v[6:7], v[8:9], v[16:17]
	s_delay_alu instid0(VALU_DEP_1) | instskip(NEXT) | instid1(VALU_DEP_1)
	v_mul_u64_e32 v[8:9], s[12:13], v[6:7]
	v_sub_nc_u32_e32 v5, v12, v9
	s_delay_alu instid0(VALU_DEP_2) | instskip(NEXT) | instid1(VALU_DEP_1)
	v_sub_co_u32 v8, vcc_lo, v10, v8
	v_sub_co_ci_u32_e64 v12, null, v12, v9, vcc_lo
	s_delay_alu instid0(VALU_DEP_3) | instskip(NEXT) | instid1(VALU_DEP_3)
	v_subrev_co_ci_u32_e64 v5, null, s13, v5, vcc_lo
	v_sub_co_u32 v10, s2, v8, s12
	s_delay_alu instid0(VALU_DEP_1) | instskip(NEXT) | instid1(VALU_DEP_2)
	v_subrev_co_ci_u32_e64 v5, null, 0, v5, s2
	v_cmp_le_u32_e32 vcc_lo, s12, v10
	v_cndmask_b32_e64 v9, 0, -1, vcc_lo
	s_delay_alu instid0(VALU_DEP_3)
	v_cmp_le_u32_e32 vcc_lo, s13, v5
	v_cndmask_b32_e64 v10, 0, -1, vcc_lo
	v_cmp_le_u32_e32 vcc_lo, s12, v8
	v_cndmask_b32_e64 v13, 0, -1, vcc_lo
	v_cmp_le_u32_e32 vcc_lo, s13, v12
	v_cndmask_b32_e64 v14, 0, -1, vcc_lo
	v_cmp_eq_u32_e32 vcc_lo, s13, v5
	v_cndmask_b32_e32 v5, v10, v9, vcc_lo
	v_cmp_eq_u32_e32 vcc_lo, s13, v12
	v_add_nc_u64_e32 v[8:9], 2, v[6:7]
	v_add_nc_u64_e32 v[10:11], 1, v[6:7]
	v_cndmask_b32_e32 v12, v14, v13, vcc_lo
	v_cmp_ne_u32_e32 vcc_lo, 0, v5
	s_delay_alu instid0(VALU_DEP_2) | instskip(NEXT) | instid1(VALU_DEP_4)
	v_cmp_ne_u32_e64 s2, 0, v12
	v_dual_cndmask_b32 v8, v10, v8 :: v_dual_cndmask_b32 v5, v11, v9
	s_delay_alu instid0(VALU_DEP_1) | instskip(NEXT) | instid1(VALU_DEP_1)
	v_dual_cndmask_b32 v6, v6, v8, s2 :: v_dual_cndmask_b32 v7, v7, v5, s2
	v_dual_mov_b32 v5, v4 :: v_dual_bitop2_b32 v6, v6, v4 bitop3:0x14
	s_delay_alu instid0(VALU_DEP_2) | instskip(NEXT) | instid1(VALU_DEP_1)
	v_xor_b32_e32 v7, v7, v4
	v_sub_nc_u64_e32 v[6:7], v[6:7], v[4:5]
.LBB5_7:
	s_and_not1_saveexec_b32 s2, s14
	s_cbranch_execz .LBB5_9
; %bb.8:
	v_cvt_f32_u32_e32 v4, s8
	s_sub_co_i32 s10, 0, s8
	s_delay_alu instid0(VALU_DEP_1) | instskip(SKIP_1) | instid1(TRANS32_DEP_1)
	v_rcp_iflag_f32_e32 v4, v4
	v_nop
	v_mul_f32_e32 v4, 0x4f7ffffe, v4
	s_delay_alu instid0(VALU_DEP_1) | instskip(NEXT) | instid1(VALU_DEP_1)
	v_cvt_u32_f32_e32 v4, v4
	v_mul_lo_u32 v5, s10, v4
	s_delay_alu instid0(VALU_DEP_1) | instskip(NEXT) | instid1(VALU_DEP_1)
	v_mul_hi_u32 v5, v4, v5
	v_add_nc_u32_e32 v4, v4, v5
	s_delay_alu instid0(VALU_DEP_1) | instskip(NEXT) | instid1(VALU_DEP_1)
	v_mul_hi_u32 v4, v2, v4
	v_mul_lo_u32 v5, v4, s8
	s_delay_alu instid0(VALU_DEP_1) | instskip(NEXT) | instid1(VALU_DEP_1)
	v_dual_add_nc_u32 v6, 1, v4 :: v_dual_sub_nc_u32 v5, v2, v5
	v_subrev_nc_u32_e32 v7, s8, v5
	v_cmp_le_u32_e32 vcc_lo, s8, v5
	s_delay_alu instid0(VALU_DEP_2) | instskip(NEXT) | instid1(VALU_DEP_4)
	v_dual_cndmask_b32 v5, v5, v7, vcc_lo :: v_dual_mov_b32 v7, 0
	v_cndmask_b32_e32 v4, v4, v6, vcc_lo
	s_delay_alu instid0(VALU_DEP_2) | instskip(NEXT) | instid1(VALU_DEP_2)
	v_cmp_le_u32_e32 vcc_lo, s8, v5
	v_add_nc_u32_e32 v6, 1, v4
	s_delay_alu instid0(VALU_DEP_1)
	v_cndmask_b32_e32 v6, v4, v6, vcc_lo
.LBB5_9:
	s_or_b32 exec_lo, exec_lo, s2
	s_delay_alu instid0(VALU_DEP_1) | instskip(SKIP_1) | instid1(VALU_DEP_1)
	v_dual_mov_b32 v8, 0 :: v_dual_bitop2_b32 v9, s7, v7 bitop3:0x54
                                        ; implicit-def: $vgpr4_vgpr5
	s_mov_b32 s2, exec_lo
	v_cmpx_ne_u64_e32 0, v[8:9]
	s_xor_b32 s12, exec_lo, s2
	s_cbranch_execz .LBB5_11
; %bb.10:
	s_ashr_i32 s10, s7, 31
	s_mov_b32 s21, 0
	s_mov_b32 s11, s10
	v_dual_mov_b32 v13, v8 :: v_dual_ashrrev_i32 v4, 31, v7
	s_add_nc_u64 s[14:15], s[6:7], s[10:11]
	v_dual_mov_b32 v21, v8 :: v_dual_mov_b32 v9, v8
	s_xor_b64 s[10:11], s[14:15], s[10:11]
	s_delay_alu instid0(VALU_DEP_2) | instskip(SKIP_3) | instid1(VALU_DEP_1)
	v_mov_b32_e32 v5, v4
	s_cvt_f32_u32 s2, s10
	s_cvt_f32_u32 s13, s11
	s_sub_nc_u64 s[16:17], 0, s[10:11]
	v_add_nc_u64_e32 v[10:11], v[6:7], v[4:5]
	s_delay_alu instid0(SALU_CYCLE_1) | instskip(SKIP_1) | instid1(SALU_CYCLE_2)
	s_fmamk_f32 s2, s13, 0x4f800000, s2
	v_mov_b32_e32 v15, v8
	v_s_rcp_f32 s2, s2
	s_delay_alu instid0(VALU_DEP_2) | instskip(NEXT) | instid1(VALU_DEP_3)
	v_xor_b32_e32 v12, v10, v4
	v_xor_b32_e32 v14, v11, v4
	s_delay_alu instid0(TRANS32_DEP_1) | instskip(NEXT) | instid1(SALU_CYCLE_3)
	s_mul_f32 s2, s2, 0x5f7ffffc
	s_mul_f32 s13, s2, 0x2f800000
	s_delay_alu instid0(SALU_CYCLE_3) | instskip(NEXT) | instid1(SALU_CYCLE_3)
	s_trunc_f32 s13, s13
	s_fmamk_f32 s2, s13, 0xcf800000, s2
	s_cvt_u32_f32 s15, s13
	s_delay_alu instid0(SALU_CYCLE_2) | instskip(NEXT) | instid1(SALU_CYCLE_3)
	s_cvt_u32_f32 s14, s2
	s_mul_u64 s[18:19], s[16:17], s[14:15]
	s_delay_alu instid0(SALU_CYCLE_1)
	s_mul_hi_u32 s23, s14, s19
	s_mul_i32 s22, s14, s19
	s_mul_hi_u32 s20, s14, s18
	s_mul_i32 s13, s15, s18
	s_add_nc_u64 s[22:23], s[20:21], s[22:23]
	s_mul_hi_u32 s2, s15, s18
	s_mul_hi_u32 s24, s15, s19
	s_add_co_u32 s13, s22, s13
	s_add_co_ci_u32 s20, s23, s2
	s_mul_i32 s18, s15, s19
	s_add_co_ci_u32 s19, s24, 0
	s_delay_alu instid0(SALU_CYCLE_1) | instskip(NEXT) | instid1(SALU_CYCLE_1)
	s_add_nc_u64 s[18:19], s[20:21], s[18:19]
	s_add_co_u32 s14, s14, s18
	s_cselect_b32 s2, -1, 0
	s_delay_alu instid0(SALU_CYCLE_1) | instskip(SKIP_1) | instid1(SALU_CYCLE_1)
	s_cmp_lg_u32 s2, 0
	s_add_co_ci_u32 s15, s15, s19
	s_mul_u64 s[16:17], s[16:17], s[14:15]
	s_delay_alu instid0(SALU_CYCLE_1)
	s_mul_hi_u32 s19, s14, s17
	s_mul_i32 s18, s14, s17
	s_mul_hi_u32 s20, s14, s16
	s_mul_i32 s13, s15, s16
	s_add_nc_u64 s[18:19], s[20:21], s[18:19]
	s_mul_hi_u32 s2, s15, s16
	s_mul_hi_u32 s22, s15, s17
	s_add_co_u32 s13, s18, s13
	s_add_co_ci_u32 s20, s19, s2
	s_mul_i32 s16, s15, s17
	s_add_co_ci_u32 s17, s22, 0
	s_delay_alu instid0(SALU_CYCLE_1) | instskip(NEXT) | instid1(SALU_CYCLE_1)
	s_add_nc_u64 s[16:17], s[20:21], s[16:17]
	s_add_co_u32 s2, s14, s16
	s_cselect_b32 s13, -1, 0
	v_mul_hi_u32 v20, v12, s2
	s_cmp_lg_u32 s13, 0
	s_add_co_ci_u32 s20, s15, s17
	s_mov_b64 s[14:15], 0xffffffff
	v_mul_u64_e32 v[16:17], s[20:21], v[12:13]
	s_and_b64 s[14:15], s[2:3], s[14:15]
	v_mul_u64_e32 v[18:19], s[20:21], v[14:15]
	v_mul_u64_e32 v[10:11], s[14:15], v[14:15]
	s_delay_alu instid0(VALU_DEP_3) | instskip(NEXT) | instid1(VALU_DEP_1)
	v_add_nc_u64_e32 v[16:17], v[20:21], v[16:17]
	v_add_co_u32 v8, vcc_lo, v16, v10
	s_delay_alu instid0(VALU_DEP_2) | instskip(SKIP_1) | instid1(VALU_DEP_1)
	v_add_co_ci_u32_e32 v8, vcc_lo, v17, v11, vcc_lo
	v_add_co_ci_u32_e32 v19, vcc_lo, 0, v19, vcc_lo
	v_add_nc_u64_e32 v[8:9], v[8:9], v[18:19]
	s_delay_alu instid0(VALU_DEP_1) | instskip(NEXT) | instid1(VALU_DEP_1)
	v_mul_u64_e32 v[8:9], s[10:11], v[8:9]
	v_sub_nc_u32_e32 v10, v14, v9
	s_delay_alu instid0(VALU_DEP_2) | instskip(NEXT) | instid1(VALU_DEP_1)
	v_sub_co_u32 v8, vcc_lo, v12, v8
	v_sub_co_ci_u32_e64 v9, null, v14, v9, vcc_lo
	s_delay_alu instid0(VALU_DEP_3) | instskip(NEXT) | instid1(VALU_DEP_3)
	v_subrev_co_ci_u32_e64 v10, null, s11, v10, vcc_lo
	v_sub_co_u32 v11, vcc_lo, v8, s10
	v_cmp_le_u32_e64 s2, s10, v8
	s_delay_alu instid0(VALU_DEP_3) | instskip(SKIP_1) | instid1(VALU_DEP_3)
	v_subrev_co_ci_u32_e64 v12, null, 0, v10, vcc_lo
	v_subrev_co_ci_u32_e64 v10, null, s11, v10, vcc_lo
	v_cndmask_b32_e64 v13, 0, -1, s2
	v_cmp_le_u32_e64 s2, s10, v11
	v_cmp_le_u32_e32 vcc_lo, s11, v9
	s_delay_alu instid0(VALU_DEP_2) | instskip(SKIP_3) | instid1(VALU_DEP_3)
	v_cndmask_b32_e64 v14, 0, -1, s2
	v_cmp_le_u32_e64 s2, s11, v12
	v_cndmask_b32_e64 v16, 0, -1, vcc_lo
	v_cmp_eq_u32_e32 vcc_lo, s11, v12
	v_cndmask_b32_e64 v15, 0, -1, s2
	v_cmp_eq_u32_e64 s2, s11, v9
	s_delay_alu instid0(VALU_DEP_2) | instskip(SKIP_1) | instid1(VALU_DEP_1)
	v_cndmask_b32_e32 v14, v15, v14, vcc_lo
	v_sub_co_u32 v15, vcc_lo, v11, s10
	v_subrev_co_ci_u32_e64 v10, null, 0, v10, vcc_lo
	s_delay_alu instid0(VALU_DEP_3) | instskip(NEXT) | instid1(VALU_DEP_3)
	v_cmp_ne_u32_e32 vcc_lo, 0, v14
	v_dual_cndmask_b32 v13, v16, v13, s2 :: v_dual_cndmask_b32 v11, v11, v15, vcc_lo
	s_delay_alu instid0(VALU_DEP_3) | instskip(NEXT) | instid1(VALU_DEP_2)
	v_cndmask_b32_e32 v10, v12, v10, vcc_lo
	v_cmp_ne_u32_e32 vcc_lo, 0, v13
	s_delay_alu instid0(VALU_DEP_2) | instskip(NEXT) | instid1(VALU_DEP_1)
	v_dual_cndmask_b32 v9, v9, v10 :: v_dual_cndmask_b32 v8, v8, v11
	v_xor_b32_e32 v9, v9, v4
	s_delay_alu instid0(VALU_DEP_2) | instskip(NEXT) | instid1(VALU_DEP_1)
	v_xor_b32_e32 v8, v8, v4
	v_sub_nc_u64_e32 v[4:5], v[8:9], v[4:5]
.LBB5_11:
	s_and_not1_saveexec_b32 s2, s12
	s_cbranch_execz .LBB5_13
; %bb.12:
	v_cvt_f32_u32_e32 v4, s6
	s_sub_co_i32 s10, 0, s6
	s_delay_alu instid0(VALU_DEP_1) | instskip(SKIP_1) | instid1(TRANS32_DEP_1)
	v_rcp_iflag_f32_e32 v4, v4
	v_nop
	v_mul_f32_e32 v4, 0x4f7ffffe, v4
	s_delay_alu instid0(VALU_DEP_1) | instskip(NEXT) | instid1(VALU_DEP_1)
	v_cvt_u32_f32_e32 v4, v4
	v_mul_lo_u32 v5, s10, v4
	s_delay_alu instid0(VALU_DEP_1) | instskip(NEXT) | instid1(VALU_DEP_1)
	v_mul_hi_u32 v5, v4, v5
	v_add_nc_u32_e32 v4, v4, v5
	s_delay_alu instid0(VALU_DEP_1) | instskip(NEXT) | instid1(VALU_DEP_1)
	v_mul_hi_u32 v4, v6, v4
	v_mul_lo_u32 v4, v4, s6
	s_delay_alu instid0(VALU_DEP_1) | instskip(NEXT) | instid1(VALU_DEP_1)
	v_sub_nc_u32_e32 v4, v6, v4
	v_subrev_nc_u32_e32 v5, s6, v4
	v_cmp_le_u32_e32 vcc_lo, s6, v4
	s_delay_alu instid0(VALU_DEP_2) | instskip(NEXT) | instid1(VALU_DEP_1)
	v_cndmask_b32_e32 v4, v4, v5, vcc_lo
	v_subrev_nc_u32_e32 v5, s6, v4
	v_cmp_le_u32_e32 vcc_lo, s6, v4
	s_delay_alu instid0(VALU_DEP_2)
	v_dual_cndmask_b32 v4, v4, v5 :: v_dual_mov_b32 v5, 0
.LBB5_13:
	s_or_b32 exec_lo, exec_lo, s2
	s_clause 0x4
	s_load_b64 s[20:21], s[0:1], 0x150
	s_load_b128 s[12:15], s[0:1], 0x140
	s_load_b128 s[24:27], s[0:1], 0x128
	s_load_b64 s[10:11], s[0:1], 0x108
	s_load_b64 s[22:23], s[0:1], 0x18
	s_bfe_u32 s2, ttmp6, 0x40014
	s_bfe_u32 s17, ttmp6, 0x40010
	s_lshr_b32 s16, ttmp7, 16
	s_add_co_i32 s2, s2, 1
	s_and_b32 s28, ttmp7, 0xffff
	s_add_co_i32 s17, s17, 1
	s_mul_i32 s2, s16, s2
	s_bfe_u32 s18, ttmp6, 0x40008
	s_mul_i32 s17, s28, s17
	s_bfe_u32 s19, ttmp6, 0x40004
	s_add_co_i32 s18, s18, s2
	s_add_co_i32 s29, s19, s17
	s_cmp_eq_u32 s3, 0
	s_mov_b32 s17, 0
	s_cselect_b32 s18, s16, s18
	s_mov_b32 s19, s17
	s_cselect_b32 s16, s28, s29
	s_wait_kmcnt 0x0
	s_mul_u64 s[2:3], s[24:25], s[18:19]
	s_delay_alu instid0(SALU_CYCLE_1) | instskip(NEXT) | instid1(SALU_CYCLE_1)
	s_lshl_b64 s[2:3], s[2:3], 2
	s_add_nc_u64 s[24:25], s[10:11], s[2:3]
	s_sub_nc_u64 s[10:11], s[22:23], s[12:13]
	s_add_nc_u64 s[2:3], s[4:5], -1
	v_mov_b64_e32 v[8:9], s[10:11]
	s_mul_u64 s[4:5], s[26:27], s[16:17]
	s_mov_b32 s22, exec_lo
	s_lshl_b64 s[4:5], s[4:5], 2
	s_delay_alu instid0(SALU_CYCLE_1)
	s_add_nc_u64 s[4:5], s[24:25], s[4:5]
	v_cmpx_ne_u64_e64 s[2:3], v[0:1]
	s_cbranch_execz .LBB5_15
; %bb.14:
	s_xor_b32 s23, s10, s11
	s_xor_b32 s25, s2, s3
	s_cls_i32 s24, s11
	s_ashr_i32 s23, s23, 31
	s_cls_i32 s26, s3
	s_ashr_i32 s25, s25, 31
	s_add_co_i32 s24, s24, -1
	s_add_co_i32 s23, s23, 32
	s_add_co_i32 s26, s26, -1
	s_add_co_i32 s25, s25, 32
	s_min_u32 s23, s24, s23
	s_min_u32 s24, s26, s25
	s_lshl_b64 s[10:11], s[10:11], s23
	s_lshl_b64 s[2:3], s[2:3], s24
	s_min_u32 s10, s10, 1
	s_min_u32 s2, s2, 1
	s_or_b32 s10, s11, s10
	s_or_b32 s2, s3, s2
	s_cvt_f32_i32 s3, s10
	s_cvt_f32_i32 s2, s2
	s_sub_co_i32 s10, 32, s23
	s_sub_co_i32 s11, 32, s24
	v_ldexp_f32 v10, s3, s10
	v_ldexp_f32 v11, s2, s11
	v_cls_i32_e32 v13, v1
	s_load_b32 s2, s[4:5], 0x0
	s_delay_alu instid0(VALU_DEP_2) | instskip(SKIP_1) | instid1(VALU_DEP_2)
	v_div_scale_f32 v9, null, v11, v11, v10
	v_div_scale_f32 v15, vcc_lo, v10, v11, v10
	v_rcp_f32_e32 v12, v9
	v_xor_b32_e32 v14, 0x80000000, v9
	s_delay_alu instid0(TRANS32_DEP_1) | instid1(VALU_DEP_1)
	v_fma_f32 v9, v14, v12, 1.0
	s_delay_alu instid0(VALU_DEP_1) | instskip(NEXT) | instid1(VALU_DEP_1)
	v_dual_fmac_f32 v12, v9, v12 :: v_dual_bitop2_b32 v8, v0, v1 bitop3:0x14
	v_ashrrev_i32_e32 v8, 31, v8
	s_delay_alu instid0(VALU_DEP_2) | instskip(NEXT) | instid1(VALU_DEP_2)
	v_mul_f32_e32 v16, v15, v12
	v_add_nc_u32_e32 v8, 32, v8
	s_delay_alu instid0(VALU_DEP_2) | instskip(NEXT) | instid1(VALU_DEP_2)
	v_fma_f32 v17, v14, v16, v15
	v_add_min_u32_e64 v13, v13, -1, v8
	s_delay_alu instid0(VALU_DEP_2) | instskip(NEXT) | instid1(VALU_DEP_2)
	v_fmac_f32_e32 v16, v17, v12
	v_lshlrev_b64_e32 v[8:9], v13, v[0:1]
	s_delay_alu instid0(VALU_DEP_2) | instskip(NEXT) | instid1(VALU_DEP_2)
	v_fmac_f32_e32 v15, v14, v16
	v_min_u32_e32 v8, 1, v8
	s_delay_alu instid0(VALU_DEP_1) | instskip(NEXT) | instid1(VALU_DEP_1)
	v_dual_sub_nc_u32 v9, 32, v13 :: v_dual_bitop2_b32 v8, v9, v8 bitop3:0x54
	v_cvt_f32_i32_e32 v8, v8
	s_delay_alu instid0(VALU_DEP_1) | instskip(SKIP_2) | instid1(VALU_DEP_2)
	v_ldexp_f32 v8, v8, v9
	v_div_fmas_f32 v9, v15, v12, v16
	s_wait_kmcnt 0x0
	v_add_f32_e32 v8, s2, v8
	s_delay_alu instid0(VALU_DEP_2) | instskip(NEXT) | instid1(VALU_DEP_1)
	v_div_fixup_f32 v9, v9, v11, v10
	v_mul_f32_e32 v8, v9, v8
	v_readfirstlane_b32 s3, v9
	s_delay_alu instid0(VALU_DEP_2) | instskip(SKIP_1) | instid1(VALU_DEP_1)
	v_trunc_f32_e32 v8, v8
	s_mul_f32 s2, s3, s2
	v_mul_f32_e64 v9, 0x2f800000, |v8|
	s_delay_alu instid0(SALU_CYCLE_2) | instskip(NEXT) | instid1(VALU_DEP_1)
	s_trunc_f32 s10, s2
	v_floor_f32_e32 v9, v9
	s_delay_alu instid0(SALU_CYCLE_2)
	s_and_b32 s2, s10, 0x7fffffff
	s_ashr_i32 s10, s10, 31
	s_mul_f32 s3, s2, 0x2f800000
	s_mov_b32 s11, s10
	v_fma_f32 v10, 0xcf800000, v9, |v8|
	v_ashrrev_i32_e32 v8, 31, v8
	v_cvt_u32_f32_e32 v11, v9
	s_floor_f32 s3, s3
	s_delay_alu instid0(VALU_DEP_3) | instskip(NEXT) | instid1(VALU_DEP_3)
	v_cvt_u32_f32_e32 v10, v10
	v_mov_b32_e32 v9, v8
	s_delay_alu instid0(SALU_CYCLE_1) | instskip(SKIP_4) | instid1(VALU_DEP_1)
	s_fmamk_f32 s2, s3, 0xcf800000, s2
	v_xor_b32_e32 v11, v11, v8
	s_cvt_u32_f32 s3, s3
	v_xor_b32_e32 v10, v10, v8
	s_cvt_u32_f32 s2, s2
	v_sub_nc_u64_e32 v[8:9], v[10:11], v[8:9]
	s_delay_alu instid0(SALU_CYCLE_2) | instskip(NEXT) | instid1(SALU_CYCLE_1)
	s_xor_b64 s[2:3], s[2:3], s[10:11]
	s_sub_nc_u64 s[2:3], s[10:11], s[2:3]
	s_delay_alu instid0(VALU_DEP_1) | instid1(SALU_CYCLE_1)
	v_add_nc_u64_e32 v[8:9], s[2:3], v[8:9]
.LBB5_15:
	s_or_b32 exec_lo, exec_lo, s22
	s_clause 0x1
	s_load_b64 s[2:3], s[0:1], 0x20
	s_load_b64 s[10:11], s[0:1], 0x138
	s_add_nc_u64 s[6:7], s[6:7], -1
	s_mov_b32 s24, exec_lo
	s_wait_kmcnt 0x0
	s_sub_nc_u64 s[22:23], s[2:3], s[14:15]
	s_delay_alu instid0(SALU_CYCLE_1)
	v_mov_b64_e32 v[10:11], s[22:23]
	v_cmpx_ne_u64_e64 s[6:7], v[4:5]
	s_cbranch_execz .LBB5_17
; %bb.16:
	s_xor_b32 s25, s22, s23
	s_xor_b32 s27, s6, s7
	s_cls_i32 s26, s23
	s_ashr_i32 s25, s25, 31
	s_cls_i32 s28, s7
	s_ashr_i32 s27, s27, 31
	s_add_co_i32 s26, s26, -1
	s_add_co_i32 s25, s25, 32
	s_add_co_i32 s28, s28, -1
	s_add_co_i32 s27, s27, 32
	s_min_u32 s25, s26, s25
	s_min_u32 s26, s28, s27
	s_lshl_b64 s[22:23], s[22:23], s25
	s_lshl_b64 s[6:7], s[6:7], s26
	s_min_u32 s22, s22, 1
	s_min_u32 s6, s6, 1
	s_or_b32 s22, s23, s22
	s_or_b32 s6, s7, s6
	s_cvt_f32_i32 s7, s22
	s_cvt_f32_i32 s6, s6
	s_sub_co_i32 s22, 32, s25
	s_sub_co_i32 s23, 32, s26
	v_ldexp_f32 v12, s7, s22
	v_ldexp_f32 v13, s6, s23
	v_cls_i32_e32 v15, v5
	s_lshl_b64 s[6:7], s[10:11], 2
	s_delay_alu instid0(SALU_CYCLE_1) | instskip(NEXT) | instid1(VALU_DEP_2)
	s_add_nc_u64 s[6:7], s[4:5], s[6:7]
	v_div_scale_f32 v11, null, v13, v13, v12
	v_div_scale_f32 v17, vcc_lo, v12, v13, v12
	s_load_b32 s6, s[6:7], 0x0
	v_rcp_f32_e32 v14, v11
	v_xor_b32_e32 v16, 0x80000000, v11
	s_delay_alu instid0(TRANS32_DEP_1) | instid1(VALU_DEP_1)
	v_fma_f32 v11, v16, v14, 1.0
	s_delay_alu instid0(VALU_DEP_1) | instskip(NEXT) | instid1(VALU_DEP_1)
	v_dual_fmac_f32 v14, v11, v14 :: v_dual_bitop2_b32 v10, v4, v5 bitop3:0x14
	v_ashrrev_i32_e32 v10, 31, v10
	s_delay_alu instid0(VALU_DEP_2) | instskip(NEXT) | instid1(VALU_DEP_2)
	v_mul_f32_e32 v18, v17, v14
	v_add_nc_u32_e32 v10, 32, v10
	s_delay_alu instid0(VALU_DEP_2) | instskip(NEXT) | instid1(VALU_DEP_2)
	v_fma_f32 v19, v16, v18, v17
	v_add_min_u32_e64 v15, v15, -1, v10
	s_delay_alu instid0(VALU_DEP_2) | instskip(NEXT) | instid1(VALU_DEP_2)
	v_fmac_f32_e32 v18, v19, v14
	v_lshlrev_b64_e32 v[10:11], v15, v[4:5]
	s_delay_alu instid0(VALU_DEP_2) | instskip(NEXT) | instid1(VALU_DEP_2)
	v_fmac_f32_e32 v17, v16, v18
	v_min_u32_e32 v10, 1, v10
	s_delay_alu instid0(VALU_DEP_1) | instskip(NEXT) | instid1(VALU_DEP_1)
	v_dual_sub_nc_u32 v11, 32, v15 :: v_dual_bitop2_b32 v10, v11, v10 bitop3:0x54
	v_cvt_f32_i32_e32 v10, v10
	s_delay_alu instid0(VALU_DEP_1) | instskip(SKIP_2) | instid1(VALU_DEP_2)
	v_ldexp_f32 v10, v10, v11
	v_div_fmas_f32 v11, v17, v14, v18
	s_wait_kmcnt 0x0
	v_add_f32_e32 v10, s6, v10
	s_delay_alu instid0(VALU_DEP_2) | instskip(NEXT) | instid1(VALU_DEP_1)
	v_div_fixup_f32 v11, v11, v13, v12
	v_mul_f32_e32 v10, v11, v10
	v_readfirstlane_b32 s7, v11
	s_delay_alu instid0(VALU_DEP_2) | instskip(SKIP_1) | instid1(VALU_DEP_1)
	v_trunc_f32_e32 v10, v10
	s_mul_f32 s6, s7, s6
	v_mul_f32_e64 v11, 0x2f800000, |v10|
	s_delay_alu instid0(SALU_CYCLE_2) | instskip(NEXT) | instid1(VALU_DEP_1)
	s_trunc_f32 s22, s6
	v_floor_f32_e32 v11, v11
	s_delay_alu instid0(SALU_CYCLE_2)
	s_and_b32 s6, s22, 0x7fffffff
	s_ashr_i32 s22, s22, 31
	s_mul_f32 s7, s6, 0x2f800000
	s_mov_b32 s23, s22
	v_fma_f32 v12, 0xcf800000, v11, |v10|
	v_ashrrev_i32_e32 v10, 31, v10
	v_cvt_u32_f32_e32 v13, v11
	s_floor_f32 s7, s7
	s_delay_alu instid0(VALU_DEP_3) | instskip(NEXT) | instid1(VALU_DEP_3)
	v_cvt_u32_f32_e32 v12, v12
	v_mov_b32_e32 v11, v10
	s_delay_alu instid0(SALU_CYCLE_1) | instskip(SKIP_4) | instid1(VALU_DEP_1)
	s_fmamk_f32 s6, s7, 0xcf800000, s6
	v_xor_b32_e32 v13, v13, v10
	s_cvt_u32_f32 s7, s7
	v_xor_b32_e32 v12, v12, v10
	s_cvt_u32_f32 s6, s6
	v_sub_nc_u64_e32 v[10:11], v[12:13], v[10:11]
	s_delay_alu instid0(SALU_CYCLE_2) | instskip(NEXT) | instid1(SALU_CYCLE_1)
	s_xor_b64 s[6:7], s[6:7], s[22:23]
	s_sub_nc_u64 s[6:7], s[22:23], s[6:7]
	s_delay_alu instid0(VALU_DEP_1) | instid1(SALU_CYCLE_1)
	v_add_nc_u64_e32 v[10:11], s[6:7], v[10:11]
.LBB5_17:
	s_or_b32 exec_lo, exec_lo, s24
	v_mul_u64_e32 v[6:7], s[8:9], v[6:7]
	s_load_b64 s[22:23], s[0:1], 0x28
	s_add_nc_u64 s[6:7], s[8:9], -1
	s_mov_b32 s24, exec_lo
	s_wait_kmcnt 0x0
	s_sub_nc_u64 s[8:9], s[22:23], s[20:21]
	s_delay_alu instid0(SALU_CYCLE_1) | instskip(NEXT) | instid1(VALU_DEP_2)
	v_mov_b64_e32 v[12:13], s[8:9]
	v_sub_nc_u64_e32 v[2:3], v[2:3], v[6:7]
	s_delay_alu instid0(VALU_DEP_1)
	v_cmpx_ne_u64_e64 s[6:7], v[2:3]
	s_cbranch_execz .LBB5_19
; %bb.18:
	s_xor_b32 s25, s8, s9
	s_xor_b32 s27, s6, s7
	s_cls_i32 s26, s9
	s_ashr_i32 s25, s25, 31
	s_cls_i32 s28, s7
	s_ashr_i32 s27, s27, 31
	s_add_co_i32 s26, s26, -1
	s_add_co_i32 s25, s25, 32
	s_add_co_i32 s28, s28, -1
	s_add_co_i32 s27, s27, 32
	s_min_u32 s25, s26, s25
	s_min_u32 s26, s28, s27
	s_lshl_b64 s[8:9], s[8:9], s25
	s_lshl_b64 s[6:7], s[6:7], s26
	s_min_u32 s8, s8, 1
	s_min_u32 s6, s6, 1
	s_or_b32 s8, s9, s8
	s_or_b32 s6, s7, s6
	s_cvt_f32_i32 s7, s8
	s_cvt_f32_i32 s6, s6
	s_sub_co_i32 s8, 32, s25
	s_sub_co_i32 s9, 32, s26
	v_ldexp_f32 v12, s7, s8
	v_ldexp_f32 v13, s6, s9
	s_lshl_b64 s[6:7], s[10:11], 3
	s_delay_alu instid0(SALU_CYCLE_1) | instskip(NEXT) | instid1(VALU_DEP_1)
	s_add_nc_u64 s[4:5], s[4:5], s[6:7]
	v_div_scale_f32 v6, null, v13, v13, v12
	v_div_scale_f32 v17, vcc_lo, v12, v13, v12
	s_load_b32 s4, s[4:5], 0x0
	v_rcp_f32_e32 v14, v6
	v_xor_b32_e32 v15, 0x80000000, v6
	v_clz_i32_u32_e32 v6, v3
	s_delay_alu instid0(TRANS32_DEP_1) | instid1(VALU_DEP_2)
	v_fma_f32 v7, v15, v14, 1.0
	s_delay_alu instid0(VALU_DEP_2) | instskip(NEXT) | instid1(VALU_DEP_2)
	v_min_u32_e32 v16, 32, v6
	v_fmac_f32_e32 v14, v7, v14
	s_delay_alu instid0(VALU_DEP_2) | instskip(NEXT) | instid1(VALU_DEP_1)
	v_lshlrev_b64_e32 v[6:7], v16, v[2:3]
	v_min_u32_e32 v6, 1, v6
	s_delay_alu instid0(VALU_DEP_1) | instskip(NEXT) | instid1(VALU_DEP_4)
	v_dual_sub_nc_u32 v7, 32, v16 :: v_dual_bitop2_b32 v6, v7, v6 bitop3:0x54
	v_mul_f32_e32 v18, v17, v14
	s_delay_alu instid0(VALU_DEP_2) | instskip(NEXT) | instid1(VALU_DEP_2)
	v_cvt_f32_u32_e32 v6, v6
	v_fma_f32 v19, v15, v18, v17
	s_delay_alu instid0(VALU_DEP_2) | instskip(NEXT) | instid1(VALU_DEP_2)
	v_ldexp_f32 v6, v6, v7
	v_fmac_f32_e32 v18, v19, v14
	s_wait_kmcnt 0x0
	s_delay_alu instid0(VALU_DEP_2) | instskip(NEXT) | instid1(VALU_DEP_2)
	v_add_f32_e32 v6, s4, v6
	v_fmac_f32_e32 v17, v15, v18
	s_delay_alu instid0(VALU_DEP_1) | instskip(NEXT) | instid1(VALU_DEP_1)
	v_div_fmas_f32 v7, v17, v14, v18
	v_div_fixup_f32 v7, v7, v13, v12
	s_delay_alu instid0(VALU_DEP_1) | instskip(SKIP_1) | instid1(VALU_DEP_2)
	v_mul_f32_e32 v6, v7, v6
	v_readfirstlane_b32 s5, v7
	v_trunc_f32_e32 v6, v6
	s_mul_f32 s4, s5, s4
	s_delay_alu instid0(VALU_DEP_1) | instskip(NEXT) | instid1(SALU_CYCLE_2)
	v_mul_f32_e64 v7, 0x2f800000, |v6|
	s_trunc_f32 s6, s4
	s_delay_alu instid0(VALU_DEP_1) | instskip(NEXT) | instid1(SALU_CYCLE_2)
	v_floor_f32_e32 v7, v7
	s_and_b32 s4, s6, 0x7fffffff
	s_ashr_i32 s6, s6, 31
	s_mul_f32 s5, s4, 0x2f800000
	s_mov_b32 s7, s6
	v_fma_f32 v12, 0xcf800000, v7, |v6|
	v_ashrrev_i32_e32 v6, 31, v6
	v_cvt_u32_f32_e32 v13, v7
	s_floor_f32 s5, s5
	s_delay_alu instid0(VALU_DEP_3) | instskip(NEXT) | instid1(VALU_DEP_3)
	v_cvt_u32_f32_e32 v12, v12
	v_mov_b32_e32 v7, v6
	s_delay_alu instid0(SALU_CYCLE_1) | instskip(SKIP_4) | instid1(VALU_DEP_1)
	s_fmamk_f32 s4, s5, 0xcf800000, s4
	v_xor_b32_e32 v13, v13, v6
	s_cvt_u32_f32 s5, s5
	v_xor_b32_e32 v12, v12, v6
	s_cvt_u32_f32 s4, s4
	v_sub_nc_u64_e32 v[6:7], v[12:13], v[6:7]
	s_delay_alu instid0(SALU_CYCLE_2) | instskip(NEXT) | instid1(SALU_CYCLE_1)
	s_xor_b64 s[4:5], s[4:5], s[6:7]
	s_sub_nc_u64 s[4:5], s[6:7], s[4:5]
	s_delay_alu instid0(VALU_DEP_1) | instid1(SALU_CYCLE_1)
	v_add_nc_u64_e32 v[12:13], s[4:5], v[6:7]
.LBB5_19:
	s_or_b32 exec_lo, exec_lo, s24
	v_mad_nc_u64_u32 v[6:7], s2, v8, v[10:11]
	v_cmp_lt_i64_e64 s4, s[12:13], 1
	s_and_b32 vcc_lo, exec_lo, s4
	v_mad_u32 v7, s3, v8, v7
	s_delay_alu instid0(VALU_DEP_1) | instskip(NEXT) | instid1(VALU_DEP_1)
	v_mad_u32 v7, s2, v9, v7
	v_mul_u64_e32 v[14:15], s[22:23], v[6:7]
	s_delay_alu instid0(VALU_DEP_1)
	v_add_nc_u64_e32 v[6:7], v[12:13], v[14:15]
	s_cbranch_vccnz .LBB5_37
; %bb.20:
	s_clause 0x2
	s_load_b256 s[4:11], s[0:1], 0x30
	s_load_b64 s[26:27], s[0:1], 0x50
	s_load_b64 s[24:25], s[0:1], 0x0
	v_add_nc_u64_e32 v[16:17], s[12:13], v[8:9]
	s_add_nc_u64 s[12:13], s[20:21], -8
	v_add_nc_u64_e32 v[18:19], s[14:15], v[10:11]
	v_cmp_gt_i64_e64 s14, s[14:15], 0
	v_cmp_gt_u64_e64 s15, s[12:13], -7
	v_mov_b32_e32 v40, 0xff800000
	s_wait_kmcnt 0x0
	v_mul_u64_e32 v[20:21], s[10:11], v[10:11]
	v_mul_u64_e32 v[22:23], s[26:27], v[12:13]
	;; [unrolled: 1-line block ×3, first 2 shown]
	s_mul_u64 s[4:5], s[4:5], s[18:19]
	s_mul_u64 s[6:7], s[6:7], s[16:17]
	s_lshl_b64 s[4:5], s[4:5], 2
	s_lshl_b64 s[6:7], s[6:7], 2
	s_add_nc_u64 s[12:13], s[24:25], s[4:5]
	v_cmp_gt_i64_e64 s24, s[20:21], 0
	s_lshl_b64 s[4:5], s[8:9], 2
	s_add_nc_u64 s[8:9], s[12:13], s[6:7]
	s_lshl_b64 s[6:7], s[10:11], 2
	s_mul_u64 s[10:11], s[2:3], s[22:23]
	s_mov_b32 s25, 0
	v_cndmask_b32_e64 v41, 0, 1, s24
	v_lshlrev_b64_e32 v[26:27], 2, v[20:21]
	v_add_nc_u64_e32 v[20:21], s[20:21], v[12:13]
	s_delay_alu instid0(VALU_DEP_2) | instskip(NEXT) | instid1(VALU_DEP_1)
	v_lshl_add_u64 v[22:23], v[22:23], 2, v[26:27]
	v_lshl_add_u64 v[22:23], v[24:25], 2, v[22:23]
	v_mov_b64_e32 v[24:25], v[6:7]
	s_delay_alu instid0(VALU_DEP_2)
	v_add_nc_u64_e32 v[22:23], s[8:9], v[22:23]
	s_lshl_b64 s[8:9], s[26:27], 2
	s_branch .LBB5_23
.LBB5_21:                               ;   in Loop: Header=BB5_23 Depth=1
	s_or_b32 exec_lo, exec_lo, s26
	v_mov_b64_e32 v[24:25], v[34:35]
	v_mov_b32_e32 v40, v42
.LBB5_22:                               ;   in Loop: Header=BB5_23 Depth=1
	v_add_nc_u64_e32 v[8:9], 1, v[8:9]
	v_add_nc_u64_e32 v[6:7], s[10:11], v[6:7]
	;; [unrolled: 1-line block ×4, first 2 shown]
	s_delay_alu instid0(VALU_DEP_4) | instskip(SKIP_1) | instid1(SALU_CYCLE_1)
	v_cmp_ge_i64_e32 vcc_lo, v[8:9], v[16:17]
	s_or_b32 s25, vcc_lo, s25
	s_and_not1_b32 exec_lo, exec_lo, s25
	s_cbranch_execz .LBB5_36
.LBB5_23:                               ; =>This Loop Header: Depth=1
                                        ;     Child Loop BB5_27 Depth 2
                                        ;       Child Loop BB5_29 Depth 3
                                        ;       Child Loop BB5_34 Depth 3
	s_and_not1_b32 vcc_lo, exec_lo, s14
	s_cbranch_vccnz .LBB5_22
; %bb.24:                               ;   in Loop: Header=BB5_23 Depth=1
	s_delay_alu instid0(VALU_DEP_1)
	v_mov_b64_e32 v[26:27], v[22:23]
	v_mov_b64_e32 v[28:29], v[14:15]
	;; [unrolled: 1-line block ×4, first 2 shown]
	s_mov_b32 s26, 0
	s_branch .LBB5_27
.LBB5_25:                               ;   in Loop: Header=BB5_27 Depth=2
	v_mov_b64_e32 v[34:35], v[24:25]
	v_mov_b32_e32 v42, v40
.LBB5_26:                               ;   in Loop: Header=BB5_27 Depth=2
	v_add_nc_u64_e32 v[32:33], 1, v[32:33]
	v_add_nc_u64_e32 v[26:27], s[6:7], v[26:27]
	;; [unrolled: 1-line block ×4, first 2 shown]
	v_mov_b64_e32 v[24:25], v[34:35]
	v_mov_b32_e32 v40, v42
	v_cmp_ge_i64_e32 vcc_lo, v[32:33], v[18:19]
	s_or_b32 s26, vcc_lo, s26
	s_delay_alu instid0(SALU_CYCLE_1)
	s_and_not1_b32 exec_lo, exec_lo, s26
	s_cbranch_execz .LBB5_21
.LBB5_27:                               ;   Parent Loop BB5_23 Depth=1
                                        ; =>  This Loop Header: Depth=2
                                        ;       Child Loop BB5_29 Depth 3
                                        ;       Child Loop BB5_34 Depth 3
	v_cmp_ne_u32_e64 s2, 1, v41
	s_and_not1_b32 vcc_lo, exec_lo, s15
	s_mov_b32 s3, -1
                                        ; implicit-def: $vgpr42
                                        ; implicit-def: $vgpr34_vgpr35
	s_cbranch_vccnz .LBB5_31
; %bb.28:                               ;   in Loop: Header=BB5_27 Depth=2
	v_mov_b64_e32 v[34:35], v[24:25]
	v_mov_b64_e32 v[36:37], v[30:31]
	;; [unrolled: 1-line block ×3, first 2 shown]
	v_mov_b32_e32 v42, v40
	s_and_b32 vcc_lo, exec_lo, s2
	s_mov_b64 s[12:13], s[20:21]
	s_cbranch_vccnz .LBB5_30
.LBB5_29:                               ;   Parent Loop BB5_23 Depth=1
                                        ;     Parent Loop BB5_27 Depth=2
                                        ; =>    This Inner Loop Header: Depth=3
	global_load_b32 v43, v[38:39], off
	s_wait_xcnt 0x0
	v_add_nc_u64_e32 v[38:39], s[8:9], v[38:39]
	s_add_nc_u64 s[12:13], s[12:13], -1
	s_wait_loadcnt 0x0
	v_cmp_gt_f32_e32 vcc_lo, v43, v42
	v_cmp_u_f32_e64 s2, v43, v43
	s_or_b32 vcc_lo, vcc_lo, s2
	s_cmp_lg_u64 s[12:13], 0
	v_dual_cndmask_b32 v35, v35, v37 :: v_dual_cndmask_b32 v34, v34, v36
	v_add_nc_u64_e32 v[36:37], 1, v[36:37]
	v_cndmask_b32_e32 v42, v42, v43, vcc_lo
	s_cbranch_scc1 .LBB5_29
.LBB5_30:                               ;   in Loop: Header=BB5_27 Depth=2
	s_mov_b32 s3, 0
.LBB5_31:                               ;   in Loop: Header=BB5_27 Depth=2
	s_delay_alu instid0(SALU_CYCLE_1)
	s_and_not1_b32 vcc_lo, exec_lo, s3
	s_cbranch_vccnz .LBB5_26
; %bb.32:                               ;   in Loop: Header=BB5_27 Depth=2
	s_and_not1_b32 vcc_lo, exec_lo, s24
	s_cbranch_vccnz .LBB5_25
; %bb.33:                               ;   in Loop: Header=BB5_27 Depth=2
	v_mov_b64_e32 v[34:35], v[26:27]
	v_mov_b64_e32 v[36:37], v[12:13]
	s_mov_b32 s12, 0
.LBB5_34:                               ;   Parent Loop BB5_23 Depth=1
                                        ;     Parent Loop BB5_27 Depth=2
                                        ; =>    This Inner Loop Header: Depth=3
	global_load_b32 v42, v[34:35], off
	v_add_nc_u64_e32 v[38:39], v[28:29], v[36:37]
	v_add_nc_u64_e32 v[36:37], 1, v[36:37]
	s_wait_xcnt 0x0
	v_add_nc_u64_e32 v[34:35], s[8:9], v[34:35]
	s_delay_alu instid0(VALU_DEP_2)
	v_cmp_ge_i64_e64 s3, v[36:37], v[20:21]
	s_wait_loadcnt 0x0
	v_cmp_gt_f32_e32 vcc_lo, v42, v40
	v_cmp_u_f32_e64 s2, v42, v42
	s_or_b32 vcc_lo, vcc_lo, s2
	s_or_b32 s12, s3, s12
	v_dual_cndmask_b32 v25, v25, v39 :: v_dual_cndmask_b32 v24, v24, v38
	v_cndmask_b32_e32 v40, v40, v42, vcc_lo
	s_and_not1_b32 exec_lo, exec_lo, s12
	s_cbranch_execnz .LBB5_34
; %bb.35:                               ;   in Loop: Header=BB5_27 Depth=2
	s_or_b32 exec_lo, exec_lo, s12
	s_branch .LBB5_25
.LBB5_36:
	s_or_b32 exec_lo, exec_lo, s25
	v_mov_b64_e32 v[6:7], v[24:25]
	s_branch .LBB5_38
.LBB5_37:
	v_mov_b32_e32 v40, 0xff800000
.LBB5_38:
	s_clause 0x3
	s_load_b256 s[4:11], s[0:1], 0xe0
	s_load_b256 s[20:27], s[0:1], 0x88
	s_load_b64 s[2:3], s[0:1], 0x100
	s_load_b128 s[12:15], s[0:1], 0xa8
	s_wait_kmcnt 0x0
	v_mul_u64_e32 v[8:9], s[8:9], v[0:1]
	v_mul_u64_e32 v[0:1], s[24:25], v[0:1]
	;; [unrolled: 1-line block ×4, first 2 shown]
	s_load_b64 s[0:1], s[0:1], 0x58
	v_mul_u64_e32 v[12:13], s[2:3], v[2:3]
	v_mul_u64_e32 v[2:3], s[12:13], v[2:3]
	s_mul_u64 s[2:3], s[4:5], s[18:19]
	s_mul_u64 s[4:5], s[6:7], s[16:17]
	;; [unrolled: 1-line block ×3, first 2 shown]
	s_lshl_b64 s[2:3], s[2:3], 3
	s_mul_u64 s[8:9], s[22:23], s[16:17]
	s_lshl_b64 s[6:7], s[6:7], 2
	s_lshl_b64 s[4:5], s[4:5], 3
	s_add_nc_u64 s[2:3], s[14:15], s[2:3]
	s_lshl_b64 s[8:9], s[8:9], 2
	s_add_nc_u64 s[2:3], s[2:3], s[4:5]
	s_wait_kmcnt 0x0
	s_add_nc_u64 s[0:1], s[0:1], s[6:7]
	s_delay_alu instid0(SALU_CYCLE_1) | instskip(SKIP_2) | instid1(VALU_DEP_2)
	s_add_nc_u64 s[0:1], s[0:1], s[8:9]
	v_lshl_add_u64 v[8:9], v[8:9], 3, s[2:3]
	v_lshl_add_u64 v[0:1], v[0:1], 2, s[0:1]
	;; [unrolled: 1-line block ×3, first 2 shown]
	s_delay_alu instid0(VALU_DEP_2) | instskip(NEXT) | instid1(VALU_DEP_2)
	v_lshl_add_u64 v[0:1], v[4:5], 2, v[0:1]
	v_lshl_add_u64 v[4:5], v[12:13], 3, v[8:9]
	s_delay_alu instid0(VALU_DEP_2)
	v_lshl_add_u64 v[0:1], v[2:3], 2, v[0:1]
	global_store_b64 v[4:5], v[6:7], off
	global_store_b32 v[0:1], v40, off
.LBB5_39:
	s_endpgm
	.section	.rodata,"a",@progbits
	.p2align	6, 0x0
	.amdhsa_kernel _ZN2at6native12_GLOBAL__N_131fractional_max_pool3d_out_frameIfEEvN5torch10headeronly6detail27GenericPackedTensorAccessorINS5_14TensorAccessorIN3c108ArrayRefIlEEKT_Lm4ENS4_16DefaultPtrTraitsElEENS_6detail16IndexBoundsCheckILm5ElEESC_Lm5ESD_lEENS6_INS7_ISA_SB_Lm4ESD_lEESH_SB_Lm5ESD_lEENS6_INS7_ISA_lLm4ESD_lEESH_lLm5ESD_lEENS6_INS7_ISA_SC_Lm2ESD_lEENSG_ILm3ElEESC_Lm3ESD_lEElll
		.amdhsa_group_segment_fixed_size 0
		.amdhsa_private_segment_fixed_size 0
		.amdhsa_kernarg_size 600
		.amdhsa_user_sgpr_count 2
		.amdhsa_user_sgpr_dispatch_ptr 0
		.amdhsa_user_sgpr_queue_ptr 0
		.amdhsa_user_sgpr_kernarg_segment_ptr 1
		.amdhsa_user_sgpr_dispatch_id 0
		.amdhsa_user_sgpr_kernarg_preload_length 0
		.amdhsa_user_sgpr_kernarg_preload_offset 0
		.amdhsa_user_sgpr_private_segment_size 0
		.amdhsa_wavefront_size32 1
		.amdhsa_uses_dynamic_stack 0
		.amdhsa_enable_private_segment 0
		.amdhsa_system_sgpr_workgroup_id_x 1
		.amdhsa_system_sgpr_workgroup_id_y 1
		.amdhsa_system_sgpr_workgroup_id_z 1
		.amdhsa_system_sgpr_workgroup_info 0
		.amdhsa_system_vgpr_workitem_id 0
		.amdhsa_next_free_vgpr 44
		.amdhsa_next_free_sgpr 30
		.amdhsa_named_barrier_count 0
		.amdhsa_reserve_vcc 1
		.amdhsa_float_round_mode_32 0
		.amdhsa_float_round_mode_16_64 0
		.amdhsa_float_denorm_mode_32 3
		.amdhsa_float_denorm_mode_16_64 3
		.amdhsa_fp16_overflow 0
		.amdhsa_memory_ordered 1
		.amdhsa_forward_progress 1
		.amdhsa_inst_pref_size 39
		.amdhsa_round_robin_scheduling 0
		.amdhsa_exception_fp_ieee_invalid_op 0
		.amdhsa_exception_fp_denorm_src 0
		.amdhsa_exception_fp_ieee_div_zero 0
		.amdhsa_exception_fp_ieee_overflow 0
		.amdhsa_exception_fp_ieee_underflow 0
		.amdhsa_exception_fp_ieee_inexact 0
		.amdhsa_exception_int_div_zero 0
	.end_amdhsa_kernel
	.section	.text._ZN2at6native12_GLOBAL__N_131fractional_max_pool3d_out_frameIfEEvN5torch10headeronly6detail27GenericPackedTensorAccessorINS5_14TensorAccessorIN3c108ArrayRefIlEEKT_Lm4ENS4_16DefaultPtrTraitsElEENS_6detail16IndexBoundsCheckILm5ElEESC_Lm5ESD_lEENS6_INS7_ISA_SB_Lm4ESD_lEESH_SB_Lm5ESD_lEENS6_INS7_ISA_lLm4ESD_lEESH_lLm5ESD_lEENS6_INS7_ISA_SC_Lm2ESD_lEENSG_ILm3ElEESC_Lm3ESD_lEElll,"axG",@progbits,_ZN2at6native12_GLOBAL__N_131fractional_max_pool3d_out_frameIfEEvN5torch10headeronly6detail27GenericPackedTensorAccessorINS5_14TensorAccessorIN3c108ArrayRefIlEEKT_Lm4ENS4_16DefaultPtrTraitsElEENS_6detail16IndexBoundsCheckILm5ElEESC_Lm5ESD_lEENS6_INS7_ISA_SB_Lm4ESD_lEESH_SB_Lm5ESD_lEENS6_INS7_ISA_lLm4ESD_lEESH_lLm5ESD_lEENS6_INS7_ISA_SC_Lm2ESD_lEENSG_ILm3ElEESC_Lm3ESD_lEElll,comdat
.Lfunc_end5:
	.size	_ZN2at6native12_GLOBAL__N_131fractional_max_pool3d_out_frameIfEEvN5torch10headeronly6detail27GenericPackedTensorAccessorINS5_14TensorAccessorIN3c108ArrayRefIlEEKT_Lm4ENS4_16DefaultPtrTraitsElEENS_6detail16IndexBoundsCheckILm5ElEESC_Lm5ESD_lEENS6_INS7_ISA_SB_Lm4ESD_lEESH_SB_Lm5ESD_lEENS6_INS7_ISA_lLm4ESD_lEESH_lLm5ESD_lEENS6_INS7_ISA_SC_Lm2ESD_lEENSG_ILm3ElEESC_Lm3ESD_lEElll, .Lfunc_end5-_ZN2at6native12_GLOBAL__N_131fractional_max_pool3d_out_frameIfEEvN5torch10headeronly6detail27GenericPackedTensorAccessorINS5_14TensorAccessorIN3c108ArrayRefIlEEKT_Lm4ENS4_16DefaultPtrTraitsElEENS_6detail16IndexBoundsCheckILm5ElEESC_Lm5ESD_lEENS6_INS7_ISA_SB_Lm4ESD_lEESH_SB_Lm5ESD_lEENS6_INS7_ISA_lLm4ESD_lEESH_lLm5ESD_lEENS6_INS7_ISA_SC_Lm2ESD_lEENSG_ILm3ElEESC_Lm3ESD_lEElll
                                        ; -- End function
	.set _ZN2at6native12_GLOBAL__N_131fractional_max_pool3d_out_frameIfEEvN5torch10headeronly6detail27GenericPackedTensorAccessorINS5_14TensorAccessorIN3c108ArrayRefIlEEKT_Lm4ENS4_16DefaultPtrTraitsElEENS_6detail16IndexBoundsCheckILm5ElEESC_Lm5ESD_lEENS6_INS7_ISA_SB_Lm4ESD_lEESH_SB_Lm5ESD_lEENS6_INS7_ISA_lLm4ESD_lEESH_lLm5ESD_lEENS6_INS7_ISA_SC_Lm2ESD_lEENSG_ILm3ElEESC_Lm3ESD_lEElll.num_vgpr, 44
	.set _ZN2at6native12_GLOBAL__N_131fractional_max_pool3d_out_frameIfEEvN5torch10headeronly6detail27GenericPackedTensorAccessorINS5_14TensorAccessorIN3c108ArrayRefIlEEKT_Lm4ENS4_16DefaultPtrTraitsElEENS_6detail16IndexBoundsCheckILm5ElEESC_Lm5ESD_lEENS6_INS7_ISA_SB_Lm4ESD_lEESH_SB_Lm5ESD_lEENS6_INS7_ISA_lLm4ESD_lEESH_lLm5ESD_lEENS6_INS7_ISA_SC_Lm2ESD_lEENSG_ILm3ElEESC_Lm3ESD_lEElll.num_agpr, 0
	.set _ZN2at6native12_GLOBAL__N_131fractional_max_pool3d_out_frameIfEEvN5torch10headeronly6detail27GenericPackedTensorAccessorINS5_14TensorAccessorIN3c108ArrayRefIlEEKT_Lm4ENS4_16DefaultPtrTraitsElEENS_6detail16IndexBoundsCheckILm5ElEESC_Lm5ESD_lEENS6_INS7_ISA_SB_Lm4ESD_lEESH_SB_Lm5ESD_lEENS6_INS7_ISA_lLm4ESD_lEESH_lLm5ESD_lEENS6_INS7_ISA_SC_Lm2ESD_lEENSG_ILm3ElEESC_Lm3ESD_lEElll.numbered_sgpr, 30
	.set _ZN2at6native12_GLOBAL__N_131fractional_max_pool3d_out_frameIfEEvN5torch10headeronly6detail27GenericPackedTensorAccessorINS5_14TensorAccessorIN3c108ArrayRefIlEEKT_Lm4ENS4_16DefaultPtrTraitsElEENS_6detail16IndexBoundsCheckILm5ElEESC_Lm5ESD_lEENS6_INS7_ISA_SB_Lm4ESD_lEESH_SB_Lm5ESD_lEENS6_INS7_ISA_lLm4ESD_lEESH_lLm5ESD_lEENS6_INS7_ISA_SC_Lm2ESD_lEENSG_ILm3ElEESC_Lm3ESD_lEElll.num_named_barrier, 0
	.set _ZN2at6native12_GLOBAL__N_131fractional_max_pool3d_out_frameIfEEvN5torch10headeronly6detail27GenericPackedTensorAccessorINS5_14TensorAccessorIN3c108ArrayRefIlEEKT_Lm4ENS4_16DefaultPtrTraitsElEENS_6detail16IndexBoundsCheckILm5ElEESC_Lm5ESD_lEENS6_INS7_ISA_SB_Lm4ESD_lEESH_SB_Lm5ESD_lEENS6_INS7_ISA_lLm4ESD_lEESH_lLm5ESD_lEENS6_INS7_ISA_SC_Lm2ESD_lEENSG_ILm3ElEESC_Lm3ESD_lEElll.private_seg_size, 0
	.set _ZN2at6native12_GLOBAL__N_131fractional_max_pool3d_out_frameIfEEvN5torch10headeronly6detail27GenericPackedTensorAccessorINS5_14TensorAccessorIN3c108ArrayRefIlEEKT_Lm4ENS4_16DefaultPtrTraitsElEENS_6detail16IndexBoundsCheckILm5ElEESC_Lm5ESD_lEENS6_INS7_ISA_SB_Lm4ESD_lEESH_SB_Lm5ESD_lEENS6_INS7_ISA_lLm4ESD_lEESH_lLm5ESD_lEENS6_INS7_ISA_SC_Lm2ESD_lEENSG_ILm3ElEESC_Lm3ESD_lEElll.uses_vcc, 1
	.set _ZN2at6native12_GLOBAL__N_131fractional_max_pool3d_out_frameIfEEvN5torch10headeronly6detail27GenericPackedTensorAccessorINS5_14TensorAccessorIN3c108ArrayRefIlEEKT_Lm4ENS4_16DefaultPtrTraitsElEENS_6detail16IndexBoundsCheckILm5ElEESC_Lm5ESD_lEENS6_INS7_ISA_SB_Lm4ESD_lEESH_SB_Lm5ESD_lEENS6_INS7_ISA_lLm4ESD_lEESH_lLm5ESD_lEENS6_INS7_ISA_SC_Lm2ESD_lEENSG_ILm3ElEESC_Lm3ESD_lEElll.uses_flat_scratch, 0
	.set _ZN2at6native12_GLOBAL__N_131fractional_max_pool3d_out_frameIfEEvN5torch10headeronly6detail27GenericPackedTensorAccessorINS5_14TensorAccessorIN3c108ArrayRefIlEEKT_Lm4ENS4_16DefaultPtrTraitsElEENS_6detail16IndexBoundsCheckILm5ElEESC_Lm5ESD_lEENS6_INS7_ISA_SB_Lm4ESD_lEESH_SB_Lm5ESD_lEENS6_INS7_ISA_lLm4ESD_lEESH_lLm5ESD_lEENS6_INS7_ISA_SC_Lm2ESD_lEENSG_ILm3ElEESC_Lm3ESD_lEElll.has_dyn_sized_stack, 0
	.set _ZN2at6native12_GLOBAL__N_131fractional_max_pool3d_out_frameIfEEvN5torch10headeronly6detail27GenericPackedTensorAccessorINS5_14TensorAccessorIN3c108ArrayRefIlEEKT_Lm4ENS4_16DefaultPtrTraitsElEENS_6detail16IndexBoundsCheckILm5ElEESC_Lm5ESD_lEENS6_INS7_ISA_SB_Lm4ESD_lEESH_SB_Lm5ESD_lEENS6_INS7_ISA_lLm4ESD_lEESH_lLm5ESD_lEENS6_INS7_ISA_SC_Lm2ESD_lEENSG_ILm3ElEESC_Lm3ESD_lEElll.has_recursion, 0
	.set _ZN2at6native12_GLOBAL__N_131fractional_max_pool3d_out_frameIfEEvN5torch10headeronly6detail27GenericPackedTensorAccessorINS5_14TensorAccessorIN3c108ArrayRefIlEEKT_Lm4ENS4_16DefaultPtrTraitsElEENS_6detail16IndexBoundsCheckILm5ElEESC_Lm5ESD_lEENS6_INS7_ISA_SB_Lm4ESD_lEESH_SB_Lm5ESD_lEENS6_INS7_ISA_lLm4ESD_lEESH_lLm5ESD_lEENS6_INS7_ISA_SC_Lm2ESD_lEENSG_ILm3ElEESC_Lm3ESD_lEElll.has_indirect_call, 0
	.section	.AMDGPU.csdata,"",@progbits
; Kernel info:
; codeLenInByte = 4944
; TotalNumSgprs: 32
; NumVgprs: 44
; ScratchSize: 0
; MemoryBound: 0
; FloatMode: 240
; IeeeMode: 1
; LDSByteSize: 0 bytes/workgroup (compile time only)
; SGPRBlocks: 0
; VGPRBlocks: 2
; NumSGPRsForWavesPerEU: 32
; NumVGPRsForWavesPerEU: 44
; NamedBarCnt: 0
; Occupancy: 16
; WaveLimiterHint : 1
; COMPUTE_PGM_RSRC2:SCRATCH_EN: 0
; COMPUTE_PGM_RSRC2:USER_SGPR: 2
; COMPUTE_PGM_RSRC2:TRAP_HANDLER: 0
; COMPUTE_PGM_RSRC2:TGID_X_EN: 1
; COMPUTE_PGM_RSRC2:TGID_Y_EN: 1
; COMPUTE_PGM_RSRC2:TGID_Z_EN: 1
; COMPUTE_PGM_RSRC2:TIDIG_COMP_CNT: 0
	.section	.text._ZN2at6native12_GLOBAL__N_131fractional_max_pool3d_out_frameIN3c104HalfEEEvN5torch10headeronly6detail27GenericPackedTensorAccessorINS7_14TensorAccessorINS3_8ArrayRefIlEEKT_Lm4ENS6_16DefaultPtrTraitsElEENS_6detail16IndexBoundsCheckILm5ElEESD_Lm5ESE_lEENS8_INS9_ISB_SC_Lm4ESE_lEESI_SC_Lm5ESE_lEENS8_INS9_ISB_lLm4ESE_lEESI_lLm5ESE_lEENS8_INS9_ISB_SD_Lm2ESE_lEENSH_ILm3ElEESD_Lm3ESE_lEElll,"axG",@progbits,_ZN2at6native12_GLOBAL__N_131fractional_max_pool3d_out_frameIN3c104HalfEEEvN5torch10headeronly6detail27GenericPackedTensorAccessorINS7_14TensorAccessorINS3_8ArrayRefIlEEKT_Lm4ENS6_16DefaultPtrTraitsElEENS_6detail16IndexBoundsCheckILm5ElEESD_Lm5ESE_lEENS8_INS9_ISB_SC_Lm4ESE_lEESI_SC_Lm5ESE_lEENS8_INS9_ISB_lLm4ESE_lEESI_lLm5ESE_lEENS8_INS9_ISB_SD_Lm2ESE_lEENSH_ILm3ElEESD_Lm3ESE_lEElll,comdat
	.globl	_ZN2at6native12_GLOBAL__N_131fractional_max_pool3d_out_frameIN3c104HalfEEEvN5torch10headeronly6detail27GenericPackedTensorAccessorINS7_14TensorAccessorINS3_8ArrayRefIlEEKT_Lm4ENS6_16DefaultPtrTraitsElEENS_6detail16IndexBoundsCheckILm5ElEESD_Lm5ESE_lEENS8_INS9_ISB_SC_Lm4ESE_lEESI_SC_Lm5ESE_lEENS8_INS9_ISB_lLm4ESE_lEESI_lLm5ESE_lEENS8_INS9_ISB_SD_Lm2ESE_lEENSH_ILm3ElEESD_Lm3ESE_lEElll ; -- Begin function _ZN2at6native12_GLOBAL__N_131fractional_max_pool3d_out_frameIN3c104HalfEEEvN5torch10headeronly6detail27GenericPackedTensorAccessorINS7_14TensorAccessorINS3_8ArrayRefIlEEKT_Lm4ENS6_16DefaultPtrTraitsElEENS_6detail16IndexBoundsCheckILm5ElEESD_Lm5ESE_lEENS8_INS9_ISB_SC_Lm4ESE_lEESI_SC_Lm5ESE_lEENS8_INS9_ISB_lLm4ESE_lEESI_lLm5ESE_lEENS8_INS9_ISB_SD_Lm2ESE_lEENSH_ILm3ElEESD_Lm3ESE_lEElll
	.p2align	8
	.type	_ZN2at6native12_GLOBAL__N_131fractional_max_pool3d_out_frameIN3c104HalfEEEvN5torch10headeronly6detail27GenericPackedTensorAccessorINS7_14TensorAccessorINS3_8ArrayRefIlEEKT_Lm4ENS6_16DefaultPtrTraitsElEENS_6detail16IndexBoundsCheckILm5ElEESD_Lm5ESE_lEENS8_INS9_ISB_SC_Lm4ESE_lEESI_SC_Lm5ESE_lEENS8_INS9_ISB_lLm4ESE_lEESI_lLm5ESE_lEENS8_INS9_ISB_SD_Lm2ESE_lEENSH_ILm3ElEESD_Lm3ESE_lEElll,@function
_ZN2at6native12_GLOBAL__N_131fractional_max_pool3d_out_frameIN3c104HalfEEEvN5torch10headeronly6detail27GenericPackedTensorAccessorINS7_14TensorAccessorINS3_8ArrayRefIlEEKT_Lm4ENS6_16DefaultPtrTraitsElEENS_6detail16IndexBoundsCheckILm5ElEESD_Lm5ESE_lEENS8_INS9_ISB_SC_Lm4ESE_lEESI_SC_Lm5ESE_lEENS8_INS9_ISB_lLm4ESE_lEESI_lLm5ESE_lEENS8_INS9_ISB_SD_Lm2ESE_lEENSH_ILm3ElEESD_Lm3ESE_lEElll: ; @_ZN2at6native12_GLOBAL__N_131fractional_max_pool3d_out_frameIN3c104HalfEEEvN5torch10headeronly6detail27GenericPackedTensorAccessorINS7_14TensorAccessorINS3_8ArrayRefIlEEKT_Lm4ENS6_16DefaultPtrTraitsElEENS_6detail16IndexBoundsCheckILm5ElEESD_Lm5ESE_lEENS8_INS9_ISB_SC_Lm4ESE_lEESI_SC_Lm5ESE_lEENS8_INS9_ISB_lLm4ESE_lEESI_lLm5ESE_lEENS8_INS9_ISB_SD_Lm2ESE_lEENSH_ILm3ElEESD_Lm3ESE_lEElll
; %bb.0:
	s_clause 0x2
	s_load_b32 s2, s[0:1], 0x164
	s_load_b128 s[4:7], s[0:1], 0x70
	s_load_b64 s[8:9], s[0:1], 0x80
	s_bfe_u32 s3, ttmp6, 0x4000c
	v_mov_b32_e32 v4, 0
	s_add_co_i32 s11, s3, 1
	s_and_b32 s10, ttmp6, 15
	s_mul_i32 s11, ttmp9, s11
	s_getreg_b32 s3, hwreg(HW_REG_IB_STS2, 6, 4)
	v_mov_b32_e32 v1, v4
	s_add_co_i32 s10, s10, s11
	s_wait_kmcnt 0x0
	s_and_b32 s2, s2, 0xffff
	s_cmp_eq_u32 s3, 0
	s_cselect_b32 s10, ttmp9, s10
	s_delay_alu instid0(SALU_CYCLE_1)
	v_mad_nc_u64_u32 v[2:3], s2, s10, v[0:1]
	s_mul_u64 s[10:11], s[8:9], s[6:7]
	s_mov_b32 s2, exec_lo
	s_mul_u64 s[12:13], s[10:11], s[4:5]
	s_delay_alu instid0(VALU_DEP_1) | instid1(SALU_CYCLE_1)
	v_cmpx_gt_i64_e64 s[12:13], v[2:3]
	s_cbranch_execz .LBB6_39
; %bb.1:
	v_or_b32_e32 v5, s11, v3
                                        ; implicit-def: $vgpr0_vgpr1
	s_delay_alu instid0(VALU_DEP_1) | instskip(SKIP_2) | instid1(SALU_CYCLE_1)
	v_cmp_ne_u64_e32 vcc_lo, 0, v[4:5]
	v_ashrrev_i32_e32 v4, 31, v3
	s_and_saveexec_b32 s2, vcc_lo
	s_xor_b32 s16, exec_lo, s2
	s_cbranch_execz .LBB6_3
; %bb.2:
	s_ashr_i32 s12, s11, 31
	s_mov_b32 s25, 0
	s_mov_b32 s13, s12
	v_dual_mov_b32 v5, v4 :: v_dual_mov_b32 v7, 0
	s_add_nc_u64 s[14:15], s[10:11], s[12:13]
	s_delay_alu instid0(SALU_CYCLE_1) | instskip(NEXT) | instid1(VALU_DEP_1)
	s_xor_b64 s[14:15], s[14:15], s[12:13]
	v_add_nc_u64_e32 v[0:1], v[2:3], v[4:5]
	s_cvt_f32_u32 s2, s14
	s_cvt_f32_u32 s11, s15
	s_sub_nc_u64 s[20:21], 0, s[14:15]
	v_dual_mov_b32 v9, v7 :: v_dual_mov_b32 v15, v7
	s_delay_alu instid0(SALU_CYCLE_1) | instskip(NEXT) | instid1(VALU_DEP_2)
	s_fmamk_f32 s2, s11, 0x4f800000, s2
	v_xor_b32_e32 v6, v0, v4
	v_xor_b32_e32 v8, v1, v4
	s_delay_alu instid0(SALU_CYCLE_1) | instskip(NEXT) | instid1(TRANS32_DEP_1)
	v_s_rcp_f32 s2, s2
	s_mul_f32 s2, s2, 0x5f7ffffc
	s_delay_alu instid0(SALU_CYCLE_3) | instskip(NEXT) | instid1(SALU_CYCLE_3)
	s_mul_f32 s11, s2, 0x2f800000
	s_trunc_f32 s11, s11
	s_delay_alu instid0(SALU_CYCLE_3) | instskip(SKIP_1) | instid1(SALU_CYCLE_2)
	s_fmamk_f32 s2, s11, 0xcf800000, s2
	s_cvt_u32_f32 s19, s11
	s_cvt_u32_f32 s18, s2
	s_delay_alu instid0(SALU_CYCLE_3) | instskip(NEXT) | instid1(SALU_CYCLE_1)
	s_mul_u64 s[22:23], s[20:21], s[18:19]
	s_mul_hi_u32 s27, s18, s23
	s_mul_i32 s26, s18, s23
	s_mul_hi_u32 s24, s18, s22
	s_mul_i32 s11, s19, s22
	s_add_nc_u64 s[26:27], s[24:25], s[26:27]
	s_mul_hi_u32 s2, s19, s22
	s_mul_hi_u32 s13, s19, s23
	s_add_co_u32 s11, s26, s11
	s_add_co_ci_u32 s24, s27, s2
	s_mul_i32 s22, s19, s23
	s_add_co_ci_u32 s23, s13, 0
	s_delay_alu instid0(SALU_CYCLE_1) | instskip(NEXT) | instid1(SALU_CYCLE_1)
	s_add_nc_u64 s[22:23], s[24:25], s[22:23]
	s_add_co_u32 s18, s18, s22
	s_cselect_b32 s2, -1, 0
	s_delay_alu instid0(SALU_CYCLE_1) | instskip(SKIP_1) | instid1(SALU_CYCLE_1)
	s_cmp_lg_u32 s2, 0
	s_add_co_ci_u32 s19, s19, s23
	s_mul_u64 s[20:21], s[20:21], s[18:19]
	s_delay_alu instid0(SALU_CYCLE_1)
	s_mul_hi_u32 s23, s18, s21
	s_mul_i32 s22, s18, s21
	s_mul_hi_u32 s24, s18, s20
	s_mul_i32 s11, s19, s20
	s_add_nc_u64 s[22:23], s[24:25], s[22:23]
	s_mul_hi_u32 s2, s19, s20
	s_mul_hi_u32 s13, s19, s21
	s_add_co_u32 s11, s22, s11
	s_add_co_ci_u32 s24, s23, s2
	s_mul_i32 s20, s19, s21
	s_add_co_ci_u32 s21, s13, 0
	s_delay_alu instid0(SALU_CYCLE_1) | instskip(NEXT) | instid1(SALU_CYCLE_1)
	s_add_nc_u64 s[20:21], s[24:25], s[20:21]
	s_add_co_u32 s2, s18, s20
	s_cselect_b32 s11, -1, 0
	v_nop
	v_mul_hi_u32 v14, v6, s2
	s_cmp_lg_u32 s11, 0
	s_add_co_ci_u32 s24, s19, s21
	s_mov_b64 s[18:19], 0xffffffff
	v_mul_u64_e32 v[10:11], s[24:25], v[6:7]
	s_and_b64 s[18:19], s[2:3], s[18:19]
	v_mul_u64_e32 v[12:13], s[24:25], v[8:9]
	v_mul_u64_e32 v[0:1], s[18:19], v[8:9]
	s_delay_alu instid0(VALU_DEP_3) | instskip(NEXT) | instid1(VALU_DEP_1)
	v_add_nc_u64_e32 v[10:11], v[14:15], v[10:11]
	v_add_co_u32 v0, vcc_lo, v10, v0
	s_delay_alu instid0(VALU_DEP_2) | instskip(SKIP_1) | instid1(VALU_DEP_1)
	v_add_co_ci_u32_e32 v14, vcc_lo, v11, v1, vcc_lo
	v_add_co_ci_u32_e32 v13, vcc_lo, 0, v13, vcc_lo
	v_add_nc_u64_e32 v[0:1], v[14:15], v[12:13]
	s_delay_alu instid0(VALU_DEP_1) | instskip(NEXT) | instid1(VALU_DEP_1)
	v_mul_u64_e32 v[10:11], s[14:15], v[0:1]
	v_sub_nc_u32_e32 v5, v8, v11
	s_delay_alu instid0(VALU_DEP_2) | instskip(NEXT) | instid1(VALU_DEP_1)
	v_sub_co_u32 v6, vcc_lo, v6, v10
	v_sub_co_ci_u32_e64 v10, null, v8, v11, vcc_lo
	s_delay_alu instid0(VALU_DEP_3) | instskip(NEXT) | instid1(VALU_DEP_3)
	v_subrev_co_ci_u32_e64 v5, null, s15, v5, vcc_lo
	v_sub_co_u32 v7, s2, v6, s14
	s_delay_alu instid0(VALU_DEP_1) | instskip(NEXT) | instid1(VALU_DEP_2)
	v_subrev_co_ci_u32_e64 v5, null, 0, v5, s2
	v_cmp_le_u32_e32 vcc_lo, s14, v7
	v_cndmask_b32_e64 v7, 0, -1, vcc_lo
	s_delay_alu instid0(VALU_DEP_3)
	v_cmp_le_u32_e32 vcc_lo, s15, v5
	v_cndmask_b32_e64 v8, 0, -1, vcc_lo
	v_cmp_le_u32_e32 vcc_lo, s14, v6
	v_cndmask_b32_e64 v11, 0, -1, vcc_lo
	;; [unrolled: 2-line block ×3, first 2 shown]
	v_cmp_eq_u32_e32 vcc_lo, s15, v5
	v_cndmask_b32_e32 v5, v8, v7, vcc_lo
	v_cmp_eq_u32_e32 vcc_lo, s15, v10
	v_add_nc_u64_e32 v[6:7], 2, v[0:1]
	v_add_nc_u64_e32 v[8:9], 1, v[0:1]
	v_cndmask_b32_e32 v10, v12, v11, vcc_lo
	v_cmp_ne_u32_e32 vcc_lo, 0, v5
	s_delay_alu instid0(VALU_DEP_2) | instskip(NEXT) | instid1(VALU_DEP_4)
	v_cmp_ne_u32_e64 s2, 0, v10
	v_dual_cndmask_b32 v5, v9, v7, vcc_lo :: v_dual_cndmask_b32 v7, v8, v6, vcc_lo
	s_delay_alu instid0(VALU_DEP_1) | instskip(NEXT) | instid1(VALU_DEP_1)
	v_dual_cndmask_b32 v0, v0, v7, s2 :: v_dual_bitop2_b32 v6, s12, v4 bitop3:0x14
	v_dual_cndmask_b32 v1, v1, v5, s2 :: v_dual_mov_b32 v7, v6
	s_delay_alu instid0(VALU_DEP_2) | instskip(NEXT) | instid1(VALU_DEP_2)
	v_xor_b32_e32 v0, v0, v6
	v_xor_b32_e32 v1, v1, v6
	s_delay_alu instid0(VALU_DEP_1)
	v_sub_nc_u64_e32 v[0:1], v[0:1], v[6:7]
.LBB6_3:
	s_and_not1_saveexec_b32 s2, s16
	s_cbranch_execz .LBB6_5
; %bb.4:
	v_cvt_f32_u32_e32 v0, s10
	s_sub_co_i32 s11, 0, s10
	s_delay_alu instid0(VALU_DEP_1) | instskip(SKIP_1) | instid1(TRANS32_DEP_1)
	v_rcp_iflag_f32_e32 v0, v0
	v_nop
	v_mul_f32_e32 v0, 0x4f7ffffe, v0
	s_delay_alu instid0(VALU_DEP_1) | instskip(NEXT) | instid1(VALU_DEP_1)
	v_cvt_u32_f32_e32 v0, v0
	v_mul_lo_u32 v1, s11, v0
	s_delay_alu instid0(VALU_DEP_1) | instskip(NEXT) | instid1(VALU_DEP_1)
	v_mul_hi_u32 v1, v0, v1
	v_add_nc_u32_e32 v0, v0, v1
	s_delay_alu instid0(VALU_DEP_1) | instskip(NEXT) | instid1(VALU_DEP_1)
	v_mul_hi_u32 v0, v2, v0
	v_mul_lo_u32 v1, v0, s10
	s_delay_alu instid0(VALU_DEP_1) | instskip(NEXT) | instid1(VALU_DEP_1)
	v_dual_add_nc_u32 v5, 1, v0 :: v_dual_sub_nc_u32 v1, v2, v1
	v_subrev_nc_u32_e32 v6, s10, v1
	v_cmp_le_u32_e32 vcc_lo, s10, v1
	s_delay_alu instid0(VALU_DEP_2) | instskip(NEXT) | instid1(VALU_DEP_1)
	v_dual_cndmask_b32 v1, v1, v6 :: v_dual_cndmask_b32 v0, v0, v5
	v_cmp_le_u32_e32 vcc_lo, s10, v1
	s_delay_alu instid0(VALU_DEP_2) | instskip(NEXT) | instid1(VALU_DEP_1)
	v_dual_add_nc_u32 v5, 1, v0 :: v_dual_mov_b32 v1, 0
	v_cndmask_b32_e32 v0, v0, v5, vcc_lo
.LBB6_5:
	s_or_b32 exec_lo, exec_lo, s2
	v_dual_mov_b32 v8, 0 :: v_dual_bitop2_b32 v9, s9, v3 bitop3:0x54
                                        ; implicit-def: $vgpr6_vgpr7
	s_mov_b32 s2, exec_lo
	s_delay_alu instid0(VALU_DEP_1)
	v_cmpx_ne_u64_e32 0, v[8:9]
	s_xor_b32 s14, exec_lo, s2
	s_cbranch_execz .LBB6_7
; %bb.6:
	s_ashr_i32 s10, s9, 31
	s_mov_b32 s23, 0
	s_mov_b32 s11, s10
	v_dual_mov_b32 v5, v4 :: v_dual_mov_b32 v11, v8
	s_add_nc_u64 s[12:13], s[8:9], s[10:11]
	v_mov_b32_e32 v9, v8
	s_xor_b64 s[12:13], s[12:13], s[10:11]
	s_delay_alu instid0(VALU_DEP_2) | instskip(SKIP_4) | instid1(SALU_CYCLE_1)
	v_add_nc_u64_e32 v[6:7], v[2:3], v[4:5]
	s_cvt_f32_u32 s2, s12
	s_cvt_f32_u32 s11, s13
	s_sub_nc_u64 s[18:19], 0, s[12:13]
	v_dual_mov_b32 v13, v8 :: v_dual_mov_b32 v19, v8
	s_fmamk_f32 s2, s11, 0x4f800000, s2
	s_delay_alu instid0(VALU_DEP_2) | instskip(SKIP_3) | instid1(TRANS32_DEP_1)
	v_xor_b32_e32 v10, v6, v4
	v_xor_b32_e32 v12, v7, v4
	;; [unrolled: 1-line block ×3, first 2 shown]
	v_s_rcp_f32 s2, s2
	s_mul_f32 s2, s2, 0x5f7ffffc
	s_delay_alu instid0(SALU_CYCLE_3) | instskip(NEXT) | instid1(SALU_CYCLE_3)
	s_mul_f32 s11, s2, 0x2f800000
	s_trunc_f32 s11, s11
	s_delay_alu instid0(SALU_CYCLE_3) | instskip(SKIP_1) | instid1(SALU_CYCLE_2)
	s_fmamk_f32 s2, s11, 0xcf800000, s2
	s_cvt_u32_f32 s17, s11
	s_cvt_u32_f32 s16, s2
	s_delay_alu instid0(SALU_CYCLE_3) | instskip(NEXT) | instid1(SALU_CYCLE_1)
	s_mul_u64 s[20:21], s[18:19], s[16:17]
	s_mul_hi_u32 s25, s16, s21
	s_mul_i32 s24, s16, s21
	s_mul_hi_u32 s22, s16, s20
	s_mul_i32 s11, s17, s20
	s_add_nc_u64 s[24:25], s[22:23], s[24:25]
	s_mul_hi_u32 s2, s17, s20
	s_mul_hi_u32 s15, s17, s21
	s_add_co_u32 s11, s24, s11
	s_add_co_ci_u32 s22, s25, s2
	s_mul_i32 s20, s17, s21
	s_add_co_ci_u32 s21, s15, 0
	s_delay_alu instid0(SALU_CYCLE_1) | instskip(NEXT) | instid1(SALU_CYCLE_1)
	s_add_nc_u64 s[20:21], s[22:23], s[20:21]
	s_add_co_u32 s16, s16, s20
	s_cselect_b32 s2, -1, 0
	s_delay_alu instid0(SALU_CYCLE_1) | instskip(SKIP_1) | instid1(SALU_CYCLE_1)
	s_cmp_lg_u32 s2, 0
	s_add_co_ci_u32 s17, s17, s21
	s_mul_u64 s[18:19], s[18:19], s[16:17]
	s_delay_alu instid0(SALU_CYCLE_1)
	s_mul_hi_u32 s21, s16, s19
	s_mul_i32 s20, s16, s19
	s_mul_hi_u32 s22, s16, s18
	s_mul_i32 s11, s17, s18
	s_add_nc_u64 s[20:21], s[22:23], s[20:21]
	s_mul_hi_u32 s2, s17, s18
	s_mul_hi_u32 s15, s17, s19
	s_add_co_u32 s11, s20, s11
	s_add_co_ci_u32 s22, s21, s2
	s_mul_i32 s18, s17, s19
	s_add_co_ci_u32 s19, s15, 0
	s_delay_alu instid0(SALU_CYCLE_1) | instskip(NEXT) | instid1(SALU_CYCLE_1)
	s_add_nc_u64 s[18:19], s[22:23], s[18:19]
	s_add_co_u32 s2, s16, s18
	s_cselect_b32 s11, -1, 0
	v_nop
	v_mul_hi_u32 v18, v10, s2
	s_cmp_lg_u32 s11, 0
	s_add_co_ci_u32 s22, s17, s19
	s_mov_b64 s[16:17], 0xffffffff
	v_mul_u64_e32 v[14:15], s[22:23], v[10:11]
	s_and_b64 s[16:17], s[2:3], s[16:17]
	v_mul_u64_e32 v[16:17], s[22:23], v[12:13]
	v_mul_u64_e32 v[6:7], s[16:17], v[12:13]
	s_delay_alu instid0(VALU_DEP_3) | instskip(NEXT) | instid1(VALU_DEP_1)
	v_add_nc_u64_e32 v[14:15], v[18:19], v[14:15]
	v_add_co_u32 v5, vcc_lo, v14, v6
	s_delay_alu instid0(VALU_DEP_2) | instskip(SKIP_1) | instid1(VALU_DEP_1)
	v_add_co_ci_u32_e32 v8, vcc_lo, v15, v7, vcc_lo
	v_add_co_ci_u32_e32 v17, vcc_lo, 0, v17, vcc_lo
	v_add_nc_u64_e32 v[6:7], v[8:9], v[16:17]
	s_delay_alu instid0(VALU_DEP_1) | instskip(NEXT) | instid1(VALU_DEP_1)
	v_mul_u64_e32 v[8:9], s[12:13], v[6:7]
	v_sub_nc_u32_e32 v5, v12, v9
	s_delay_alu instid0(VALU_DEP_2) | instskip(NEXT) | instid1(VALU_DEP_1)
	v_sub_co_u32 v8, vcc_lo, v10, v8
	v_sub_co_ci_u32_e64 v12, null, v12, v9, vcc_lo
	s_delay_alu instid0(VALU_DEP_3) | instskip(NEXT) | instid1(VALU_DEP_3)
	v_subrev_co_ci_u32_e64 v5, null, s13, v5, vcc_lo
	v_sub_co_u32 v10, s2, v8, s12
	s_delay_alu instid0(VALU_DEP_1) | instskip(NEXT) | instid1(VALU_DEP_2)
	v_subrev_co_ci_u32_e64 v5, null, 0, v5, s2
	v_cmp_le_u32_e32 vcc_lo, s12, v10
	v_cndmask_b32_e64 v9, 0, -1, vcc_lo
	s_delay_alu instid0(VALU_DEP_3)
	v_cmp_le_u32_e32 vcc_lo, s13, v5
	v_cndmask_b32_e64 v10, 0, -1, vcc_lo
	v_cmp_le_u32_e32 vcc_lo, s12, v8
	v_cndmask_b32_e64 v13, 0, -1, vcc_lo
	;; [unrolled: 2-line block ×3, first 2 shown]
	v_cmp_eq_u32_e32 vcc_lo, s13, v5
	v_cndmask_b32_e32 v5, v10, v9, vcc_lo
	v_cmp_eq_u32_e32 vcc_lo, s13, v12
	v_add_nc_u64_e32 v[8:9], 2, v[6:7]
	v_add_nc_u64_e32 v[10:11], 1, v[6:7]
	v_cndmask_b32_e32 v12, v14, v13, vcc_lo
	v_cmp_ne_u32_e32 vcc_lo, 0, v5
	s_delay_alu instid0(VALU_DEP_2) | instskip(NEXT) | instid1(VALU_DEP_4)
	v_cmp_ne_u32_e64 s2, 0, v12
	v_dual_cndmask_b32 v8, v10, v8 :: v_dual_cndmask_b32 v5, v11, v9
	s_delay_alu instid0(VALU_DEP_1) | instskip(NEXT) | instid1(VALU_DEP_1)
	v_dual_cndmask_b32 v6, v6, v8, s2 :: v_dual_cndmask_b32 v7, v7, v5, s2
	v_dual_mov_b32 v5, v4 :: v_dual_bitop2_b32 v6, v6, v4 bitop3:0x14
	s_delay_alu instid0(VALU_DEP_2) | instskip(NEXT) | instid1(VALU_DEP_1)
	v_xor_b32_e32 v7, v7, v4
	v_sub_nc_u64_e32 v[6:7], v[6:7], v[4:5]
.LBB6_7:
	s_and_not1_saveexec_b32 s2, s14
	s_cbranch_execz .LBB6_9
; %bb.8:
	v_cvt_f32_u32_e32 v4, s8
	s_sub_co_i32 s10, 0, s8
	s_delay_alu instid0(VALU_DEP_1) | instskip(SKIP_1) | instid1(TRANS32_DEP_1)
	v_rcp_iflag_f32_e32 v4, v4
	v_nop
	v_mul_f32_e32 v4, 0x4f7ffffe, v4
	s_delay_alu instid0(VALU_DEP_1) | instskip(NEXT) | instid1(VALU_DEP_1)
	v_cvt_u32_f32_e32 v4, v4
	v_mul_lo_u32 v5, s10, v4
	s_delay_alu instid0(VALU_DEP_1) | instskip(NEXT) | instid1(VALU_DEP_1)
	v_mul_hi_u32 v5, v4, v5
	v_add_nc_u32_e32 v4, v4, v5
	s_delay_alu instid0(VALU_DEP_1) | instskip(NEXT) | instid1(VALU_DEP_1)
	v_mul_hi_u32 v4, v2, v4
	v_mul_lo_u32 v5, v4, s8
	s_delay_alu instid0(VALU_DEP_1) | instskip(NEXT) | instid1(VALU_DEP_1)
	v_dual_add_nc_u32 v6, 1, v4 :: v_dual_sub_nc_u32 v5, v2, v5
	v_subrev_nc_u32_e32 v7, s8, v5
	v_cmp_le_u32_e32 vcc_lo, s8, v5
	s_delay_alu instid0(VALU_DEP_2) | instskip(NEXT) | instid1(VALU_DEP_4)
	v_dual_cndmask_b32 v5, v5, v7, vcc_lo :: v_dual_mov_b32 v7, 0
	v_cndmask_b32_e32 v4, v4, v6, vcc_lo
	s_delay_alu instid0(VALU_DEP_2) | instskip(NEXT) | instid1(VALU_DEP_2)
	v_cmp_le_u32_e32 vcc_lo, s8, v5
	v_add_nc_u32_e32 v6, 1, v4
	s_delay_alu instid0(VALU_DEP_1)
	v_cndmask_b32_e32 v6, v4, v6, vcc_lo
.LBB6_9:
	s_or_b32 exec_lo, exec_lo, s2
	s_delay_alu instid0(VALU_DEP_1) | instskip(SKIP_1) | instid1(VALU_DEP_1)
	v_dual_mov_b32 v8, 0 :: v_dual_bitop2_b32 v9, s7, v7 bitop3:0x54
                                        ; implicit-def: $vgpr4_vgpr5
	s_mov_b32 s2, exec_lo
	v_cmpx_ne_u64_e32 0, v[8:9]
	s_xor_b32 s12, exec_lo, s2
	s_cbranch_execz .LBB6_11
; %bb.10:
	s_ashr_i32 s10, s7, 31
	s_mov_b32 s21, 0
	s_mov_b32 s11, s10
	v_dual_mov_b32 v13, v8 :: v_dual_ashrrev_i32 v4, 31, v7
	s_add_nc_u64 s[14:15], s[6:7], s[10:11]
	v_dual_mov_b32 v21, v8 :: v_dual_mov_b32 v9, v8
	s_xor_b64 s[10:11], s[14:15], s[10:11]
	s_delay_alu instid0(VALU_DEP_2) | instskip(SKIP_3) | instid1(VALU_DEP_1)
	v_mov_b32_e32 v5, v4
	s_cvt_f32_u32 s2, s10
	s_cvt_f32_u32 s13, s11
	s_sub_nc_u64 s[16:17], 0, s[10:11]
	v_add_nc_u64_e32 v[10:11], v[6:7], v[4:5]
	s_delay_alu instid0(SALU_CYCLE_1) | instskip(SKIP_1) | instid1(SALU_CYCLE_2)
	s_fmamk_f32 s2, s13, 0x4f800000, s2
	v_mov_b32_e32 v15, v8
	v_s_rcp_f32 s2, s2
	s_delay_alu instid0(VALU_DEP_2) | instskip(NEXT) | instid1(VALU_DEP_3)
	v_xor_b32_e32 v12, v10, v4
	v_xor_b32_e32 v14, v11, v4
	s_delay_alu instid0(TRANS32_DEP_1) | instskip(NEXT) | instid1(SALU_CYCLE_3)
	s_mul_f32 s2, s2, 0x5f7ffffc
	s_mul_f32 s13, s2, 0x2f800000
	s_delay_alu instid0(SALU_CYCLE_3) | instskip(NEXT) | instid1(SALU_CYCLE_3)
	s_trunc_f32 s13, s13
	s_fmamk_f32 s2, s13, 0xcf800000, s2
	s_cvt_u32_f32 s15, s13
	s_delay_alu instid0(SALU_CYCLE_2) | instskip(NEXT) | instid1(SALU_CYCLE_3)
	s_cvt_u32_f32 s14, s2
	s_mul_u64 s[18:19], s[16:17], s[14:15]
	s_delay_alu instid0(SALU_CYCLE_1)
	s_mul_hi_u32 s23, s14, s19
	s_mul_i32 s22, s14, s19
	s_mul_hi_u32 s20, s14, s18
	s_mul_i32 s13, s15, s18
	s_add_nc_u64 s[22:23], s[20:21], s[22:23]
	s_mul_hi_u32 s2, s15, s18
	s_mul_hi_u32 s24, s15, s19
	s_add_co_u32 s13, s22, s13
	s_add_co_ci_u32 s20, s23, s2
	s_mul_i32 s18, s15, s19
	s_add_co_ci_u32 s19, s24, 0
	s_delay_alu instid0(SALU_CYCLE_1) | instskip(NEXT) | instid1(SALU_CYCLE_1)
	s_add_nc_u64 s[18:19], s[20:21], s[18:19]
	s_add_co_u32 s14, s14, s18
	s_cselect_b32 s2, -1, 0
	s_delay_alu instid0(SALU_CYCLE_1) | instskip(SKIP_1) | instid1(SALU_CYCLE_1)
	s_cmp_lg_u32 s2, 0
	s_add_co_ci_u32 s15, s15, s19
	s_mul_u64 s[16:17], s[16:17], s[14:15]
	s_delay_alu instid0(SALU_CYCLE_1)
	s_mul_hi_u32 s19, s14, s17
	s_mul_i32 s18, s14, s17
	s_mul_hi_u32 s20, s14, s16
	s_mul_i32 s13, s15, s16
	s_add_nc_u64 s[18:19], s[20:21], s[18:19]
	s_mul_hi_u32 s2, s15, s16
	s_mul_hi_u32 s22, s15, s17
	s_add_co_u32 s13, s18, s13
	s_add_co_ci_u32 s20, s19, s2
	s_mul_i32 s16, s15, s17
	s_add_co_ci_u32 s17, s22, 0
	s_delay_alu instid0(SALU_CYCLE_1) | instskip(NEXT) | instid1(SALU_CYCLE_1)
	s_add_nc_u64 s[16:17], s[20:21], s[16:17]
	s_add_co_u32 s2, s14, s16
	s_cselect_b32 s13, -1, 0
	v_mul_hi_u32 v20, v12, s2
	s_cmp_lg_u32 s13, 0
	s_add_co_ci_u32 s20, s15, s17
	s_mov_b64 s[14:15], 0xffffffff
	v_mul_u64_e32 v[16:17], s[20:21], v[12:13]
	s_and_b64 s[14:15], s[2:3], s[14:15]
	v_mul_u64_e32 v[18:19], s[20:21], v[14:15]
	v_mul_u64_e32 v[10:11], s[14:15], v[14:15]
	s_delay_alu instid0(VALU_DEP_3) | instskip(NEXT) | instid1(VALU_DEP_1)
	v_add_nc_u64_e32 v[16:17], v[20:21], v[16:17]
	v_add_co_u32 v8, vcc_lo, v16, v10
	s_delay_alu instid0(VALU_DEP_2) | instskip(SKIP_1) | instid1(VALU_DEP_1)
	v_add_co_ci_u32_e32 v8, vcc_lo, v17, v11, vcc_lo
	v_add_co_ci_u32_e32 v19, vcc_lo, 0, v19, vcc_lo
	v_add_nc_u64_e32 v[8:9], v[8:9], v[18:19]
	s_delay_alu instid0(VALU_DEP_1) | instskip(NEXT) | instid1(VALU_DEP_1)
	v_mul_u64_e32 v[8:9], s[10:11], v[8:9]
	v_sub_nc_u32_e32 v10, v14, v9
	s_delay_alu instid0(VALU_DEP_2) | instskip(NEXT) | instid1(VALU_DEP_1)
	v_sub_co_u32 v8, vcc_lo, v12, v8
	v_sub_co_ci_u32_e64 v9, null, v14, v9, vcc_lo
	s_delay_alu instid0(VALU_DEP_3) | instskip(NEXT) | instid1(VALU_DEP_3)
	v_subrev_co_ci_u32_e64 v10, null, s11, v10, vcc_lo
	v_sub_co_u32 v11, vcc_lo, v8, s10
	v_cmp_le_u32_e64 s2, s10, v8
	s_delay_alu instid0(VALU_DEP_3) | instskip(SKIP_1) | instid1(VALU_DEP_3)
	v_subrev_co_ci_u32_e64 v12, null, 0, v10, vcc_lo
	v_subrev_co_ci_u32_e64 v10, null, s11, v10, vcc_lo
	v_cndmask_b32_e64 v13, 0, -1, s2
	v_cmp_le_u32_e64 s2, s10, v11
	v_cmp_le_u32_e32 vcc_lo, s11, v9
	s_delay_alu instid0(VALU_DEP_2) | instskip(SKIP_3) | instid1(VALU_DEP_3)
	v_cndmask_b32_e64 v14, 0, -1, s2
	v_cmp_le_u32_e64 s2, s11, v12
	v_cndmask_b32_e64 v16, 0, -1, vcc_lo
	v_cmp_eq_u32_e32 vcc_lo, s11, v12
	v_cndmask_b32_e64 v15, 0, -1, s2
	v_cmp_eq_u32_e64 s2, s11, v9
	s_delay_alu instid0(VALU_DEP_2) | instskip(SKIP_1) | instid1(VALU_DEP_1)
	v_cndmask_b32_e32 v14, v15, v14, vcc_lo
	v_sub_co_u32 v15, vcc_lo, v11, s10
	v_subrev_co_ci_u32_e64 v10, null, 0, v10, vcc_lo
	s_delay_alu instid0(VALU_DEP_3) | instskip(NEXT) | instid1(VALU_DEP_3)
	v_cmp_ne_u32_e32 vcc_lo, 0, v14
	v_dual_cndmask_b32 v13, v16, v13, s2 :: v_dual_cndmask_b32 v11, v11, v15, vcc_lo
	s_delay_alu instid0(VALU_DEP_3) | instskip(NEXT) | instid1(VALU_DEP_2)
	v_cndmask_b32_e32 v10, v12, v10, vcc_lo
	v_cmp_ne_u32_e32 vcc_lo, 0, v13
	s_delay_alu instid0(VALU_DEP_2) | instskip(NEXT) | instid1(VALU_DEP_1)
	v_dual_cndmask_b32 v9, v9, v10 :: v_dual_cndmask_b32 v8, v8, v11
	v_xor_b32_e32 v9, v9, v4
	s_delay_alu instid0(VALU_DEP_2) | instskip(NEXT) | instid1(VALU_DEP_1)
	v_xor_b32_e32 v8, v8, v4
	v_sub_nc_u64_e32 v[4:5], v[8:9], v[4:5]
.LBB6_11:
	s_and_not1_saveexec_b32 s2, s12
	s_cbranch_execz .LBB6_13
; %bb.12:
	v_cvt_f32_u32_e32 v4, s6
	s_sub_co_i32 s10, 0, s6
	s_delay_alu instid0(VALU_DEP_1) | instskip(SKIP_1) | instid1(TRANS32_DEP_1)
	v_rcp_iflag_f32_e32 v4, v4
	v_nop
	v_mul_f32_e32 v4, 0x4f7ffffe, v4
	s_delay_alu instid0(VALU_DEP_1) | instskip(NEXT) | instid1(VALU_DEP_1)
	v_cvt_u32_f32_e32 v4, v4
	v_mul_lo_u32 v5, s10, v4
	s_delay_alu instid0(VALU_DEP_1) | instskip(NEXT) | instid1(VALU_DEP_1)
	v_mul_hi_u32 v5, v4, v5
	v_add_nc_u32_e32 v4, v4, v5
	s_delay_alu instid0(VALU_DEP_1) | instskip(NEXT) | instid1(VALU_DEP_1)
	v_mul_hi_u32 v4, v6, v4
	v_mul_lo_u32 v4, v4, s6
	s_delay_alu instid0(VALU_DEP_1) | instskip(NEXT) | instid1(VALU_DEP_1)
	v_sub_nc_u32_e32 v4, v6, v4
	v_subrev_nc_u32_e32 v5, s6, v4
	v_cmp_le_u32_e32 vcc_lo, s6, v4
	s_delay_alu instid0(VALU_DEP_2) | instskip(NEXT) | instid1(VALU_DEP_1)
	v_cndmask_b32_e32 v4, v4, v5, vcc_lo
	v_subrev_nc_u32_e32 v5, s6, v4
	v_cmp_le_u32_e32 vcc_lo, s6, v4
	s_delay_alu instid0(VALU_DEP_2)
	v_dual_cndmask_b32 v4, v4, v5 :: v_dual_mov_b32 v5, 0
.LBB6_13:
	s_or_b32 exec_lo, exec_lo, s2
	s_clause 0x4
	s_load_b64 s[20:21], s[0:1], 0x150
	s_load_b128 s[12:15], s[0:1], 0x140
	s_load_b128 s[24:27], s[0:1], 0x128
	s_load_b64 s[10:11], s[0:1], 0x108
	s_load_b64 s[22:23], s[0:1], 0x18
	s_bfe_u32 s2, ttmp6, 0x40014
	s_bfe_u32 s17, ttmp6, 0x40010
	s_lshr_b32 s16, ttmp7, 16
	s_add_co_i32 s2, s2, 1
	s_and_b32 s28, ttmp7, 0xffff
	s_add_co_i32 s17, s17, 1
	s_mul_i32 s2, s16, s2
	s_bfe_u32 s18, ttmp6, 0x40008
	s_mul_i32 s17, s28, s17
	s_bfe_u32 s19, ttmp6, 0x40004
	s_add_co_i32 s18, s18, s2
	s_add_co_i32 s29, s19, s17
	s_cmp_eq_u32 s3, 0
	s_mov_b32 s17, 0
	s_cselect_b32 s18, s16, s18
	s_mov_b32 s19, s17
	s_cselect_b32 s16, s28, s29
	s_wait_kmcnt 0x0
	s_mul_u64 s[2:3], s[24:25], s[18:19]
	s_delay_alu instid0(SALU_CYCLE_1) | instskip(NEXT) | instid1(SALU_CYCLE_1)
	s_lshl_b64 s[2:3], s[2:3], 1
	s_add_nc_u64 s[24:25], s[10:11], s[2:3]
	s_sub_nc_u64 s[10:11], s[22:23], s[12:13]
	s_add_nc_u64 s[2:3], s[4:5], -1
	v_mov_b64_e32 v[8:9], s[10:11]
	s_mul_u64 s[4:5], s[26:27], s[16:17]
	s_mov_b32 s22, exec_lo
	s_lshl_b64 s[4:5], s[4:5], 1
	s_delay_alu instid0(SALU_CYCLE_1)
	s_add_nc_u64 s[4:5], s[24:25], s[4:5]
	v_cmpx_ne_u64_e64 s[2:3], v[0:1]
	s_cbranch_execz .LBB6_15
; %bb.14:
	s_xor_b32 s24, s10, s11
	s_xor_b32 s26, s2, s3
	s_cls_i32 s23, s11
	s_cls_i32 s25, s3
	s_ashr_i32 s24, s24, 31
	s_ashr_i32 s26, s26, 31
	s_add_co_i32 s23, s23, -1
	s_add_co_i32 s25, s25, -1
	s_add_co_i32 s24, s24, 32
	s_add_co_i32 s26, s26, 32
	s_min_u32 s23, s23, s24
	s_min_u32 s24, s25, s26
	s_lshl_b64 s[10:11], s[10:11], s23
	s_lshl_b64 s[2:3], s[2:3], s24
	s_min_u32 s10, s10, 1
	s_min_u32 s2, s2, 1
	s_or_b32 s10, s11, s10
	s_or_b32 s2, s3, s2
	s_cvt_f32_i32 s3, s10
	s_cvt_f32_i32 s2, s2
	s_sub_co_i32 s10, 32, s23
	s_sub_co_i32 s11, 32, s24
	v_ldexp_f32 v11, s3, s10
	v_ldexp_f32 v12, s2, s11
	s_delay_alu instid0(VALU_DEP_1) | instskip(SKIP_1) | instid1(VALU_DEP_2)
	v_div_scale_f32 v9, null, v12, v12, v11
	v_div_scale_f32 v17, vcc_lo, v11, v12, v11
	v_rcp_f32_e32 v13, v9
	v_xor_b32_e32 v14, 0x80000000, v9
	v_cls_i32_e32 v9, v1
	s_delay_alu instid0(TRANS32_DEP_1) | instid1(VALU_DEP_2)
	v_fma_f32 v15, v14, v13, 1.0
	s_delay_alu instid0(VALU_DEP_1) | instskip(SKIP_3) | instid1(VALU_DEP_1)
	v_dual_mov_b32 v8, 0 :: v_dual_fmac_f32 v13, v15, v13
	global_load_u16 v10, v8, s[4:5]
	v_mul_f32_e32 v15, v17, v13
	s_wait_xcnt 0x0
	v_dual_fma_f32 v18, v14, v15, v17 :: v_dual_bitop2_b32 v8, v0, v1 bitop3:0x14
	s_delay_alu instid0(VALU_DEP_1) | instskip(NEXT) | instid1(VALU_DEP_1)
	v_dual_fmac_f32 v15, v18, v13 :: v_dual_ashrrev_i32 v8, 31, v8
	v_dual_fmac_f32 v17, v14, v15 :: v_dual_add_nc_u32 v8, 32, v8
	s_delay_alu instid0(VALU_DEP_1) | instskip(NEXT) | instid1(VALU_DEP_1)
	v_add_min_u32_e64 v16, v9, -1, v8
	v_lshlrev_b64_e32 v[8:9], v16, v[0:1]
	s_delay_alu instid0(VALU_DEP_1) | instskip(NEXT) | instid1(VALU_DEP_1)
	v_min_u32_e32 v8, 1, v8
	v_or_b32_e32 v8, v9, v8
	v_sub_nc_u32_e32 v9, 32, v16
	s_delay_alu instid0(VALU_DEP_2) | instskip(NEXT) | instid1(VALU_DEP_1)
	v_cvt_f32_i32_e32 v8, v8
	v_ldexp_f32 v8, v8, v9
	s_wait_loadcnt 0x0
	v_readfirstlane_b32 s2, v10
	v_div_fmas_f32 v10, v17, v13, v15
	s_cvt_f32_f16 s2, s2
	s_delay_alu instid0(VALU_DEP_1) | instskip(NEXT) | instid1(SALU_CYCLE_2)
	v_div_fixup_f32 v9, v10, v12, v11
	v_add_f32_e32 v8, s2, v8
	s_delay_alu instid0(VALU_DEP_2) | instskip(NEXT) | instid1(VALU_DEP_2)
	v_readfirstlane_b32 s3, v9
	v_mul_f32_e32 v8, v9, v8
	s_mul_f32 s2, s3, s2
	s_delay_alu instid0(VALU_DEP_1) | instskip(NEXT) | instid1(SALU_CYCLE_2)
	v_trunc_f32_e32 v8, v8
	s_trunc_f32 s10, s2
	s_delay_alu instid0(VALU_DEP_1) | instskip(NEXT) | instid1(SALU_CYCLE_2)
	v_mul_f32_e64 v9, 0x2f800000, |v8|
	s_and_b32 s2, s10, 0x7fffffff
	s_ashr_i32 s10, s10, 31
	s_mul_f32 s3, s2, 0x2f800000
	s_mov_b32 s11, s10
	v_floor_f32_e32 v9, v9
	s_delay_alu instid0(SALU_CYCLE_1) | instskip(NEXT) | instid1(VALU_DEP_1)
	s_floor_f32 s3, s3
	v_fma_f32 v10, 0xcf800000, v9, |v8|
	v_ashrrev_i32_e32 v8, 31, v8
	v_cvt_u32_f32_e32 v11, v9
	s_fmamk_f32 s2, s3, 0xcf800000, s2
	s_cvt_u32_f32 s3, s3
	v_cvt_u32_f32_e32 v10, v10
	s_delay_alu instid0(VALU_DEP_2) | instskip(SKIP_1) | instid1(VALU_DEP_2)
	v_dual_mov_b32 v9, v8 :: v_dual_bitop2_b32 v11, v11, v8 bitop3:0x14
	s_cvt_u32_f32 s2, s2
	v_xor_b32_e32 v10, v10, v8
	s_delay_alu instid0(SALU_CYCLE_2) | instskip(NEXT) | instid1(SALU_CYCLE_1)
	s_xor_b64 s[2:3], s[2:3], s[10:11]
	s_sub_nc_u64 s[2:3], s[10:11], s[2:3]
	s_delay_alu instid0(VALU_DEP_1) | instskip(NEXT) | instid1(VALU_DEP_1)
	v_sub_nc_u64_e32 v[8:9], v[10:11], v[8:9]
	v_add_nc_u64_e32 v[8:9], s[2:3], v[8:9]
.LBB6_15:
	s_or_b32 exec_lo, exec_lo, s22
	s_clause 0x1
	s_load_b64 s[2:3], s[0:1], 0x20
	s_load_b64 s[10:11], s[0:1], 0x138
	s_add_nc_u64 s[6:7], s[6:7], -1
	s_mov_b32 s24, exec_lo
	s_wait_kmcnt 0x0
	s_sub_nc_u64 s[22:23], s[2:3], s[14:15]
	s_delay_alu instid0(SALU_CYCLE_1)
	v_mov_b64_e32 v[10:11], s[22:23]
	v_cmpx_ne_u64_e64 s[6:7], v[4:5]
	s_cbranch_execz .LBB6_17
; %bb.16:
	v_mov_b32_e32 v10, 0
	s_lshl_b64 s[26:27], s[10:11], 1
	s_xor_b32 s28, s6, s7
	s_add_nc_u64 s[26:27], s[4:5], s[26:27]
	s_cls_i32 s25, s23
	global_load_u16 v12, v10, s[26:27]
	s_wait_xcnt 0x0
	s_xor_b32 s26, s22, s23
	s_cls_i32 s27, s7
	s_ashr_i32 s26, s26, 31
	s_ashr_i32 s28, s28, 31
	s_add_co_i32 s25, s25, -1
	s_add_co_i32 s27, s27, -1
	s_add_co_i32 s26, s26, 32
	s_add_co_i32 s28, s28, 32
	s_min_u32 s25, s25, s26
	s_min_u32 s26, s27, s28
	s_lshl_b64 s[22:23], s[22:23], s25
	s_lshl_b64 s[6:7], s[6:7], s26
	s_min_u32 s22, s22, 1
	s_min_u32 s6, s6, 1
	s_or_b32 s22, s23, s22
	s_or_b32 s6, s7, s6
	s_cvt_f32_i32 s7, s22
	s_cvt_f32_i32 s6, s6
	s_sub_co_i32 s22, 32, s25
	s_sub_co_i32 s23, 32, s26
	v_ldexp_f32 v13, s7, s22
	v_ldexp_f32 v14, s6, s23
	s_delay_alu instid0(VALU_DEP_1) | instskip(SKIP_1) | instid1(VALU_DEP_2)
	v_div_scale_f32 v11, null, v14, v14, v13
	v_div_scale_f32 v19, vcc_lo, v13, v14, v13
	v_rcp_f32_e32 v15, v11
	v_xor_b32_e32 v16, 0x80000000, v11
	v_cls_i32_e32 v11, v5
	s_delay_alu instid0(TRANS32_DEP_1) | instid1(VALU_DEP_2)
	v_fma_f32 v17, v16, v15, 1.0
	s_delay_alu instid0(VALU_DEP_1) | instskip(NEXT) | instid1(VALU_DEP_1)
	v_dual_fmac_f32 v15, v17, v15 :: v_dual_bitop2_b32 v10, v4, v5 bitop3:0x14
	v_dual_mul_f32 v17, v19, v15 :: v_dual_ashrrev_i32 v10, 31, v10
	s_delay_alu instid0(VALU_DEP_1) | instskip(NEXT) | instid1(VALU_DEP_1)
	v_dual_fma_f32 v20, v16, v17, v19 :: v_dual_add_nc_u32 v10, 32, v10
	v_fmac_f32_e32 v17, v20, v15
	s_delay_alu instid0(VALU_DEP_2) | instskip(NEXT) | instid1(VALU_DEP_2)
	v_add_min_u32_e64 v18, v11, -1, v10
	v_fmac_f32_e32 v19, v16, v17
	s_delay_alu instid0(VALU_DEP_2) | instskip(NEXT) | instid1(VALU_DEP_1)
	v_lshlrev_b64_e32 v[10:11], v18, v[4:5]
	v_min_u32_e32 v10, 1, v10
	s_delay_alu instid0(VALU_DEP_1) | instskip(SKIP_1) | instid1(VALU_DEP_2)
	v_or_b32_e32 v10, v11, v10
	v_sub_nc_u32_e32 v11, 32, v18
	v_cvt_f32_i32_e32 v10, v10
	s_delay_alu instid0(VALU_DEP_1) | instskip(SKIP_4) | instid1(VALU_DEP_1)
	v_ldexp_f32 v10, v10, v11
	s_wait_loadcnt 0x0
	v_readfirstlane_b32 s6, v12
	v_div_fmas_f32 v12, v19, v15, v17
	s_cvt_f32_f16 s6, s6
	v_div_fixup_f32 v11, v12, v14, v13
	s_delay_alu instid0(SALU_CYCLE_2) | instskip(NEXT) | instid1(VALU_DEP_2)
	v_add_f32_e32 v10, s6, v10
	v_readfirstlane_b32 s7, v11
	s_delay_alu instid0(VALU_DEP_2) | instskip(SKIP_1) | instid1(VALU_DEP_1)
	v_mul_f32_e32 v10, v11, v10
	s_mul_f32 s6, s7, s6
	v_trunc_f32_e32 v10, v10
	s_delay_alu instid0(SALU_CYCLE_2) | instskip(NEXT) | instid1(SALU_CYCLE_3)
	s_trunc_f32 s22, s6
	s_and_b32 s6, s22, 0x7fffffff
	s_delay_alu instid0(VALU_DEP_1) | instskip(SKIP_2) | instid1(SALU_CYCLE_1)
	v_mul_f32_e64 v11, 0x2f800000, |v10|
	s_mul_f32 s7, s6, 0x2f800000
	s_ashr_i32 s22, s22, 31
	s_mov_b32 s23, s22
	s_delay_alu instid0(VALU_DEP_1) | instskip(SKIP_1) | instid1(SALU_CYCLE_3)
	v_floor_f32_e32 v11, v11
	s_floor_f32 s7, s7
	s_fmamk_f32 s6, s7, 0xcf800000, s6
	s_delay_alu instid0(VALU_DEP_1)
	v_fma_f32 v12, 0xcf800000, v11, |v10|
	v_ashrrev_i32_e32 v10, 31, v10
	v_cvt_u32_f32_e32 v13, v11
	s_cvt_u32_f32 s6, s6
	s_cvt_u32_f32 s7, s7
	v_cvt_u32_f32_e32 v12, v12
	s_delay_alu instid0(VALU_DEP_2) | instskip(NEXT) | instid1(SALU_CYCLE_1)
	v_dual_mov_b32 v11, v10 :: v_dual_bitop2_b32 v13, v13, v10 bitop3:0x14
	s_xor_b64 s[6:7], s[6:7], s[22:23]
	s_delay_alu instid0(VALU_DEP_2) | instskip(SKIP_1) | instid1(VALU_DEP_1)
	v_xor_b32_e32 v12, v12, v10
	s_sub_nc_u64 s[6:7], s[22:23], s[6:7]
	v_sub_nc_u64_e32 v[10:11], v[12:13], v[10:11]
	s_delay_alu instid0(VALU_DEP_1)
	v_add_nc_u64_e32 v[10:11], s[6:7], v[10:11]
.LBB6_17:
	s_or_b32 exec_lo, exec_lo, s24
	v_mul_u64_e32 v[6:7], s[8:9], v[6:7]
	s_load_b64 s[22:23], s[0:1], 0x28
	s_add_nc_u64 s[6:7], s[8:9], -1
	s_mov_b32 s24, exec_lo
	s_wait_kmcnt 0x0
	s_sub_nc_u64 s[8:9], s[22:23], s[20:21]
	s_delay_alu instid0(SALU_CYCLE_1) | instskip(NEXT) | instid1(VALU_DEP_2)
	v_mov_b64_e32 v[12:13], s[8:9]
	v_sub_nc_u64_e32 v[2:3], v[2:3], v[6:7]
	s_delay_alu instid0(VALU_DEP_1)
	v_cmpx_ne_u64_e64 s[6:7], v[2:3]
	s_cbranch_execz .LBB6_19
; %bb.18:
	v_mov_b32_e32 v6, 0
	s_lshl_b64 s[10:11], s[10:11], 2
	s_delay_alu instid0(SALU_CYCLE_1)
	s_add_nc_u64 s[4:5], s[4:5], s[10:11]
	s_xor_b32 s11, s6, s7
	global_load_u16 v12, v6, s[4:5]
	s_wait_xcnt 0x0
	s_xor_b32 s5, s8, s9
	s_cls_i32 s4, s9
	s_cls_i32 s10, s7
	s_ashr_i32 s5, s5, 31
	s_ashr_i32 s11, s11, 31
	s_add_co_i32 s4, s4, -1
	s_add_co_i32 s10, s10, -1
	s_add_co_i32 s5, s5, 32
	s_add_co_i32 s11, s11, 32
	s_min_u32 s25, s4, s5
	s_min_u32 s10, s10, s11
	s_lshl_b64 s[4:5], s[8:9], s25
	s_lshl_b64 s[6:7], s[6:7], s10
	s_min_u32 s4, s4, 1
	s_min_u32 s6, s6, 1
	s_or_b32 s4, s5, s4
	s_or_b32 s5, s7, s6
	s_cvt_f32_i32 s4, s4
	s_cvt_f32_i32 s5, s5
	s_sub_co_i32 s6, 32, s25
	s_sub_co_i32 s7, 32, s10
	v_ldexp_f32 v13, s4, s6
	v_ldexp_f32 v14, s5, s7
	s_delay_alu instid0(VALU_DEP_1) | instskip(SKIP_1) | instid1(VALU_DEP_2)
	v_div_scale_f32 v6, null, v14, v14, v13
	v_div_scale_f32 v18, vcc_lo, v13, v14, v13
	v_rcp_f32_e32 v15, v6
	v_xor_b32_e32 v16, 0x80000000, v6
	v_clz_i32_u32_e32 v6, v3
	s_delay_alu instid0(TRANS32_DEP_1) | instid1(VALU_DEP_2)
	v_fma_f32 v7, v16, v15, 1.0
	s_delay_alu instid0(VALU_DEP_2) | instskip(NEXT) | instid1(VALU_DEP_2)
	v_min_u32_e32 v17, 32, v6
	v_fmac_f32_e32 v15, v7, v15
	s_delay_alu instid0(VALU_DEP_2) | instskip(NEXT) | instid1(VALU_DEP_1)
	v_lshlrev_b64_e32 v[6:7], v17, v[2:3]
	v_min_u32_e32 v6, 1, v6
	s_delay_alu instid0(VALU_DEP_1) | instskip(NEXT) | instid1(VALU_DEP_1)
	v_dual_mul_f32 v19, v18, v15 :: v_dual_bitop2_b32 v6, v7, v6 bitop3:0x54
	v_dual_fma_f32 v20, v16, v19, v18 :: v_dual_sub_nc_u32 v7, 32, v17
	s_delay_alu instid0(VALU_DEP_2) | instskip(NEXT) | instid1(VALU_DEP_1)
	v_cvt_f32_u32_e32 v6, v6
	v_ldexp_f32 v6, v6, v7
	s_wait_loadcnt 0x0
	v_readfirstlane_b32 s4, v12
	s_cvt_f32_f16 s4, s4
	s_delay_alu instid0(SALU_CYCLE_3) | instskip(NEXT) | instid1(VALU_DEP_1)
	v_dual_fmac_f32 v19, v20, v15 :: v_dual_add_f32 v6, s4, v6
	v_fmac_f32_e32 v18, v16, v19
	s_delay_alu instid0(VALU_DEP_1) | instskip(NEXT) | instid1(VALU_DEP_1)
	v_div_fmas_f32 v12, v18, v15, v19
	v_div_fixup_f32 v7, v12, v14, v13
	s_delay_alu instid0(VALU_DEP_1) | instskip(SKIP_1) | instid1(VALU_DEP_2)
	v_mul_f32_e32 v6, v7, v6
	v_readfirstlane_b32 s5, v7
	v_trunc_f32_e32 v6, v6
	s_mul_f32 s4, s5, s4
	s_delay_alu instid0(SALU_CYCLE_3) | instskip(NEXT) | instid1(VALU_DEP_1)
	s_trunc_f32 s6, s4
	v_mul_f32_e64 v7, 0x2f800000, |v6|
	s_delay_alu instid0(SALU_CYCLE_2) | instskip(SKIP_1) | instid1(VALU_DEP_1)
	s_and_b32 s4, s6, 0x7fffffff
	s_ashr_i32 s6, s6, 31
	v_floor_f32_e32 v7, v7
	s_mul_f32 s5, s4, 0x2f800000
	s_mov_b32 s7, s6
	s_delay_alu instid0(VALU_DEP_1) | instskip(SKIP_3) | instid1(VALU_DEP_3)
	v_fma_f32 v12, 0xcf800000, v7, |v6|
	v_ashrrev_i32_e32 v6, 31, v6
	v_cvt_u32_f32_e32 v13, v7
	s_floor_f32 s5, s5
	v_cvt_u32_f32_e32 v12, v12
	s_delay_alu instid0(VALU_DEP_2) | instskip(NEXT) | instid1(SALU_CYCLE_1)
	v_dual_mov_b32 v7, v6 :: v_dual_bitop2_b32 v13, v13, v6 bitop3:0x14
	s_fmamk_f32 s4, s5, 0xcf800000, s4
	s_cvt_u32_f32 s5, s5
	s_delay_alu instid0(VALU_DEP_2) | instskip(NEXT) | instid1(SALU_CYCLE_1)
	v_xor_b32_e32 v12, v12, v6
	s_cvt_u32_f32 s4, s4
	s_delay_alu instid0(VALU_DEP_1) | instskip(NEXT) | instid1(SALU_CYCLE_2)
	v_sub_nc_u64_e32 v[6:7], v[12:13], v[6:7]
	s_xor_b64 s[4:5], s[4:5], s[6:7]
	s_delay_alu instid0(SALU_CYCLE_1)
	s_sub_nc_u64 s[4:5], s[6:7], s[4:5]
	s_delay_alu instid0(VALU_DEP_1) | instid1(SALU_CYCLE_1)
	v_add_nc_u64_e32 v[12:13], s[4:5], v[6:7]
.LBB6_19:
	s_or_b32 exec_lo, exec_lo, s24
	v_mad_nc_u64_u32 v[6:7], s2, v8, v[10:11]
	v_cmp_lt_i64_e64 s4, s[12:13], 1
	s_and_b32 vcc_lo, exec_lo, s4
	v_mad_u32 v7, s3, v8, v7
	s_delay_alu instid0(VALU_DEP_1) | instskip(NEXT) | instid1(VALU_DEP_1)
	v_mad_u32 v7, s2, v9, v7
	v_mul_u64_e32 v[14:15], s[22:23], v[6:7]
	s_delay_alu instid0(VALU_DEP_1)
	v_add_nc_u64_e32 v[6:7], v[12:13], v[14:15]
	s_cbranch_vccnz .LBB6_37
; %bb.20:
	s_clause 0x2
	s_load_b256 s[4:11], s[0:1], 0x30
	s_load_b64 s[26:27], s[0:1], 0x50
	s_load_b64 s[24:25], s[0:1], 0x0
	v_add_nc_u64_e32 v[16:17], s[12:13], v[8:9]
	s_add_nc_u64 s[12:13], s[20:21], -8
	v_add_nc_u64_e32 v[18:19], s[14:15], v[10:11]
	v_cmp_gt_i64_e64 s14, s[14:15], 0
	v_cmp_gt_u64_e64 s15, s[12:13], -7
	v_mov_b32_e32 v40, 0xfffffc00
	s_wait_kmcnt 0x0
	v_mul_u64_e32 v[20:21], s[10:11], v[10:11]
	v_mul_u64_e32 v[22:23], s[26:27], v[12:13]
	;; [unrolled: 1-line block ×3, first 2 shown]
	s_mul_u64 s[4:5], s[4:5], s[18:19]
	s_mul_u64 s[6:7], s[6:7], s[16:17]
	s_lshl_b64 s[4:5], s[4:5], 1
	s_lshl_b64 s[6:7], s[6:7], 1
	s_add_nc_u64 s[12:13], s[24:25], s[4:5]
	v_cmp_gt_i64_e64 s24, s[20:21], 0
	s_lshl_b64 s[4:5], s[8:9], 1
	s_add_nc_u64 s[8:9], s[12:13], s[6:7]
	s_lshl_b64 s[6:7], s[10:11], 1
	s_mul_u64 s[10:11], s[2:3], s[22:23]
	s_mov_b32 s25, 0
	v_cndmask_b32_e64 v41, 0, 1, s24
	v_lshlrev_b64_e32 v[26:27], 1, v[20:21]
	v_add_nc_u64_e32 v[20:21], s[20:21], v[12:13]
	s_delay_alu instid0(VALU_DEP_2) | instskip(NEXT) | instid1(VALU_DEP_1)
	v_lshl_add_u64 v[22:23], v[22:23], 1, v[26:27]
	v_lshl_add_u64 v[22:23], v[24:25], 1, v[22:23]
	v_mov_b64_e32 v[24:25], v[6:7]
	s_delay_alu instid0(VALU_DEP_2)
	v_add_nc_u64_e32 v[22:23], s[8:9], v[22:23]
	s_lshl_b64 s[8:9], s[26:27], 1
	s_branch .LBB6_23
.LBB6_21:                               ;   in Loop: Header=BB6_23 Depth=1
	s_or_b32 exec_lo, exec_lo, s26
	v_mov_b64_e32 v[24:25], v[34:35]
	v_mov_b32_e32 v40, v42
.LBB6_22:                               ;   in Loop: Header=BB6_23 Depth=1
	v_add_nc_u64_e32 v[8:9], 1, v[8:9]
	v_add_nc_u64_e32 v[6:7], s[10:11], v[6:7]
	;; [unrolled: 1-line block ×4, first 2 shown]
	s_delay_alu instid0(VALU_DEP_4) | instskip(SKIP_1) | instid1(SALU_CYCLE_1)
	v_cmp_ge_i64_e32 vcc_lo, v[8:9], v[16:17]
	s_or_b32 s25, vcc_lo, s25
	s_and_not1_b32 exec_lo, exec_lo, s25
	s_cbranch_execz .LBB6_36
.LBB6_23:                               ; =>This Loop Header: Depth=1
                                        ;     Child Loop BB6_27 Depth 2
                                        ;       Child Loop BB6_29 Depth 3
                                        ;       Child Loop BB6_34 Depth 3
	s_and_not1_b32 vcc_lo, exec_lo, s14
	s_cbranch_vccnz .LBB6_22
; %bb.24:                               ;   in Loop: Header=BB6_23 Depth=1
	s_delay_alu instid0(VALU_DEP_1)
	v_mov_b64_e32 v[26:27], v[22:23]
	v_mov_b64_e32 v[28:29], v[14:15]
	v_mov_b64_e32 v[30:31], v[6:7]
	v_mov_b64_e32 v[32:33], v[10:11]
	s_mov_b32 s26, 0
	s_branch .LBB6_27
.LBB6_25:                               ;   in Loop: Header=BB6_27 Depth=2
	v_mov_b64_e32 v[34:35], v[24:25]
	v_mov_b32_e32 v42, v40
.LBB6_26:                               ;   in Loop: Header=BB6_27 Depth=2
	v_add_nc_u64_e32 v[32:33], 1, v[32:33]
	v_add_nc_u64_e32 v[26:27], s[6:7], v[26:27]
	;; [unrolled: 1-line block ×4, first 2 shown]
	v_mov_b64_e32 v[24:25], v[34:35]
	v_mov_b32_e32 v40, v42
	v_cmp_ge_i64_e32 vcc_lo, v[32:33], v[18:19]
	s_or_b32 s26, vcc_lo, s26
	s_delay_alu instid0(SALU_CYCLE_1)
	s_and_not1_b32 exec_lo, exec_lo, s26
	s_cbranch_execz .LBB6_21
.LBB6_27:                               ;   Parent Loop BB6_23 Depth=1
                                        ; =>  This Loop Header: Depth=2
                                        ;       Child Loop BB6_29 Depth 3
                                        ;       Child Loop BB6_34 Depth 3
	v_cmp_ne_u32_e64 s2, 1, v41
	s_and_not1_b32 vcc_lo, exec_lo, s15
	s_mov_b32 s3, -1
                                        ; implicit-def: $vgpr34_vgpr35
                                        ; implicit-def: $vgpr42
	s_cbranch_vccnz .LBB6_31
; %bb.28:                               ;   in Loop: Header=BB6_27 Depth=2
	v_mov_b64_e32 v[34:35], v[24:25]
	v_mov_b64_e32 v[36:37], v[30:31]
	;; [unrolled: 1-line block ×3, first 2 shown]
	v_mov_b32_e32 v42, v40
	s_and_b32 vcc_lo, exec_lo, s2
	s_mov_b64 s[12:13], s[20:21]
	s_cbranch_vccnz .LBB6_30
.LBB6_29:                               ;   Parent Loop BB6_23 Depth=1
                                        ;     Parent Loop BB6_27 Depth=2
                                        ; =>    This Inner Loop Header: Depth=3
	global_load_u16 v43, v[38:39], off
	s_wait_xcnt 0x0
	v_add_nc_u64_e32 v[38:39], s[8:9], v[38:39]
	s_add_nc_u64 s[12:13], s[12:13], -1
	s_wait_loadcnt 0x0
	v_cmp_gt_f16_e32 vcc_lo, v43, v42
	v_cmp_u_f16_e64 s2, v43, v43
	s_or_b32 vcc_lo, vcc_lo, s2
	s_cmp_lg_u64 s[12:13], 0
	v_dual_cndmask_b32 v42, v42, v43 :: v_dual_cndmask_b32 v35, v35, v37
	v_cndmask_b32_e32 v34, v34, v36, vcc_lo
	v_add_nc_u64_e32 v[36:37], 1, v[36:37]
	s_cbranch_scc1 .LBB6_29
.LBB6_30:                               ;   in Loop: Header=BB6_27 Depth=2
	s_mov_b32 s3, 0
.LBB6_31:                               ;   in Loop: Header=BB6_27 Depth=2
	s_delay_alu instid0(SALU_CYCLE_1)
	s_and_not1_b32 vcc_lo, exec_lo, s3
	s_cbranch_vccnz .LBB6_26
; %bb.32:                               ;   in Loop: Header=BB6_27 Depth=2
	s_and_not1_b32 vcc_lo, exec_lo, s24
	s_cbranch_vccnz .LBB6_25
; %bb.33:                               ;   in Loop: Header=BB6_27 Depth=2
	v_mov_b64_e32 v[34:35], v[26:27]
	v_mov_b64_e32 v[36:37], v[12:13]
	s_mov_b32 s12, 0
.LBB6_34:                               ;   Parent Loop BB6_23 Depth=1
                                        ;     Parent Loop BB6_27 Depth=2
                                        ; =>    This Inner Loop Header: Depth=3
	global_load_u16 v42, v[34:35], off
	v_add_nc_u64_e32 v[38:39], v[28:29], v[36:37]
	v_add_nc_u64_e32 v[36:37], 1, v[36:37]
	s_wait_xcnt 0x0
	v_add_nc_u64_e32 v[34:35], s[8:9], v[34:35]
	s_delay_alu instid0(VALU_DEP_2)
	v_cmp_ge_i64_e64 s3, v[36:37], v[20:21]
	s_wait_loadcnt 0x0
	v_cmp_gt_f16_e32 vcc_lo, v42, v40
	v_cmp_u_f16_e64 s2, v42, v42
	s_or_b32 vcc_lo, vcc_lo, s2
	s_or_b32 s12, s3, s12
	v_dual_cndmask_b32 v40, v40, v42 :: v_dual_cndmask_b32 v25, v25, v39
	v_cndmask_b32_e32 v24, v24, v38, vcc_lo
	s_and_not1_b32 exec_lo, exec_lo, s12
	s_cbranch_execnz .LBB6_34
; %bb.35:                               ;   in Loop: Header=BB6_27 Depth=2
	s_or_b32 exec_lo, exec_lo, s12
	s_branch .LBB6_25
.LBB6_36:
	s_or_b32 exec_lo, exec_lo, s25
	v_mov_b64_e32 v[6:7], v[24:25]
	s_branch .LBB6_38
.LBB6_37:
	v_mov_b32_e32 v40, 0xfffffc00
.LBB6_38:
	s_clause 0x3
	s_load_b256 s[4:11], s[0:1], 0xe0
	s_load_b256 s[20:27], s[0:1], 0x88
	s_load_b64 s[2:3], s[0:1], 0x100
	s_load_b128 s[12:15], s[0:1], 0xa8
	s_wait_kmcnt 0x0
	v_mul_u64_e32 v[8:9], s[8:9], v[0:1]
	v_mul_u64_e32 v[0:1], s[24:25], v[0:1]
	;; [unrolled: 1-line block ×4, first 2 shown]
	s_load_b64 s[0:1], s[0:1], 0x58
	v_mul_u64_e32 v[12:13], s[2:3], v[2:3]
	v_mul_u64_e32 v[2:3], s[12:13], v[2:3]
	s_mul_u64 s[2:3], s[4:5], s[18:19]
	s_mul_u64 s[4:5], s[6:7], s[16:17]
	;; [unrolled: 1-line block ×3, first 2 shown]
	s_lshl_b64 s[2:3], s[2:3], 3
	s_mul_u64 s[8:9], s[22:23], s[16:17]
	s_lshl_b64 s[6:7], s[6:7], 1
	s_lshl_b64 s[4:5], s[4:5], 3
	s_add_nc_u64 s[2:3], s[14:15], s[2:3]
	s_lshl_b64 s[8:9], s[8:9], 1
	s_add_nc_u64 s[2:3], s[2:3], s[4:5]
	s_wait_kmcnt 0x0
	s_add_nc_u64 s[0:1], s[0:1], s[6:7]
	s_delay_alu instid0(SALU_CYCLE_1) | instskip(SKIP_2) | instid1(VALU_DEP_2)
	s_add_nc_u64 s[0:1], s[0:1], s[8:9]
	v_lshl_add_u64 v[8:9], v[8:9], 3, s[2:3]
	v_lshl_add_u64 v[0:1], v[0:1], 1, s[0:1]
	;; [unrolled: 1-line block ×3, first 2 shown]
	s_delay_alu instid0(VALU_DEP_2) | instskip(NEXT) | instid1(VALU_DEP_2)
	v_lshl_add_u64 v[0:1], v[4:5], 1, v[0:1]
	v_lshl_add_u64 v[4:5], v[12:13], 3, v[8:9]
	s_delay_alu instid0(VALU_DEP_2)
	v_lshl_add_u64 v[0:1], v[2:3], 1, v[0:1]
	global_store_b64 v[4:5], v[6:7], off
	global_store_b16 v[0:1], v40, off
.LBB6_39:
	s_endpgm
	.section	.rodata,"a",@progbits
	.p2align	6, 0x0
	.amdhsa_kernel _ZN2at6native12_GLOBAL__N_131fractional_max_pool3d_out_frameIN3c104HalfEEEvN5torch10headeronly6detail27GenericPackedTensorAccessorINS7_14TensorAccessorINS3_8ArrayRefIlEEKT_Lm4ENS6_16DefaultPtrTraitsElEENS_6detail16IndexBoundsCheckILm5ElEESD_Lm5ESE_lEENS8_INS9_ISB_SC_Lm4ESE_lEESI_SC_Lm5ESE_lEENS8_INS9_ISB_lLm4ESE_lEESI_lLm5ESE_lEENS8_INS9_ISB_SD_Lm2ESE_lEENSH_ILm3ElEESD_Lm3ESE_lEElll
		.amdhsa_group_segment_fixed_size 0
		.amdhsa_private_segment_fixed_size 0
		.amdhsa_kernarg_size 600
		.amdhsa_user_sgpr_count 2
		.amdhsa_user_sgpr_dispatch_ptr 0
		.amdhsa_user_sgpr_queue_ptr 0
		.amdhsa_user_sgpr_kernarg_segment_ptr 1
		.amdhsa_user_sgpr_dispatch_id 0
		.amdhsa_user_sgpr_kernarg_preload_length 0
		.amdhsa_user_sgpr_kernarg_preload_offset 0
		.amdhsa_user_sgpr_private_segment_size 0
		.amdhsa_wavefront_size32 1
		.amdhsa_uses_dynamic_stack 0
		.amdhsa_enable_private_segment 0
		.amdhsa_system_sgpr_workgroup_id_x 1
		.amdhsa_system_sgpr_workgroup_id_y 1
		.amdhsa_system_sgpr_workgroup_id_z 1
		.amdhsa_system_sgpr_workgroup_info 0
		.amdhsa_system_vgpr_workitem_id 0
		.amdhsa_next_free_vgpr 44
		.amdhsa_next_free_sgpr 30
		.amdhsa_named_barrier_count 0
		.amdhsa_reserve_vcc 1
		.amdhsa_float_round_mode_32 0
		.amdhsa_float_round_mode_16_64 0
		.amdhsa_float_denorm_mode_32 3
		.amdhsa_float_denorm_mode_16_64 3
		.amdhsa_fp16_overflow 0
		.amdhsa_memory_ordered 1
		.amdhsa_forward_progress 1
		.amdhsa_inst_pref_size 40
		.amdhsa_round_robin_scheduling 0
		.amdhsa_exception_fp_ieee_invalid_op 0
		.amdhsa_exception_fp_denorm_src 0
		.amdhsa_exception_fp_ieee_div_zero 0
		.amdhsa_exception_fp_ieee_overflow 0
		.amdhsa_exception_fp_ieee_underflow 0
		.amdhsa_exception_fp_ieee_inexact 0
		.amdhsa_exception_int_div_zero 0
	.end_amdhsa_kernel
	.section	.text._ZN2at6native12_GLOBAL__N_131fractional_max_pool3d_out_frameIN3c104HalfEEEvN5torch10headeronly6detail27GenericPackedTensorAccessorINS7_14TensorAccessorINS3_8ArrayRefIlEEKT_Lm4ENS6_16DefaultPtrTraitsElEENS_6detail16IndexBoundsCheckILm5ElEESD_Lm5ESE_lEENS8_INS9_ISB_SC_Lm4ESE_lEESI_SC_Lm5ESE_lEENS8_INS9_ISB_lLm4ESE_lEESI_lLm5ESE_lEENS8_INS9_ISB_SD_Lm2ESE_lEENSH_ILm3ElEESD_Lm3ESE_lEElll,"axG",@progbits,_ZN2at6native12_GLOBAL__N_131fractional_max_pool3d_out_frameIN3c104HalfEEEvN5torch10headeronly6detail27GenericPackedTensorAccessorINS7_14TensorAccessorINS3_8ArrayRefIlEEKT_Lm4ENS6_16DefaultPtrTraitsElEENS_6detail16IndexBoundsCheckILm5ElEESD_Lm5ESE_lEENS8_INS9_ISB_SC_Lm4ESE_lEESI_SC_Lm5ESE_lEENS8_INS9_ISB_lLm4ESE_lEESI_lLm5ESE_lEENS8_INS9_ISB_SD_Lm2ESE_lEENSH_ILm3ElEESD_Lm3ESE_lEElll,comdat
.Lfunc_end6:
	.size	_ZN2at6native12_GLOBAL__N_131fractional_max_pool3d_out_frameIN3c104HalfEEEvN5torch10headeronly6detail27GenericPackedTensorAccessorINS7_14TensorAccessorINS3_8ArrayRefIlEEKT_Lm4ENS6_16DefaultPtrTraitsElEENS_6detail16IndexBoundsCheckILm5ElEESD_Lm5ESE_lEENS8_INS9_ISB_SC_Lm4ESE_lEESI_SC_Lm5ESE_lEENS8_INS9_ISB_lLm4ESE_lEESI_lLm5ESE_lEENS8_INS9_ISB_SD_Lm2ESE_lEENSH_ILm3ElEESD_Lm3ESE_lEElll, .Lfunc_end6-_ZN2at6native12_GLOBAL__N_131fractional_max_pool3d_out_frameIN3c104HalfEEEvN5torch10headeronly6detail27GenericPackedTensorAccessorINS7_14TensorAccessorINS3_8ArrayRefIlEEKT_Lm4ENS6_16DefaultPtrTraitsElEENS_6detail16IndexBoundsCheckILm5ElEESD_Lm5ESE_lEENS8_INS9_ISB_SC_Lm4ESE_lEESI_SC_Lm5ESE_lEENS8_INS9_ISB_lLm4ESE_lEESI_lLm5ESE_lEENS8_INS9_ISB_SD_Lm2ESE_lEENSH_ILm3ElEESD_Lm3ESE_lEElll
                                        ; -- End function
	.set _ZN2at6native12_GLOBAL__N_131fractional_max_pool3d_out_frameIN3c104HalfEEEvN5torch10headeronly6detail27GenericPackedTensorAccessorINS7_14TensorAccessorINS3_8ArrayRefIlEEKT_Lm4ENS6_16DefaultPtrTraitsElEENS_6detail16IndexBoundsCheckILm5ElEESD_Lm5ESE_lEENS8_INS9_ISB_SC_Lm4ESE_lEESI_SC_Lm5ESE_lEENS8_INS9_ISB_lLm4ESE_lEESI_lLm5ESE_lEENS8_INS9_ISB_SD_Lm2ESE_lEENSH_ILm3ElEESD_Lm3ESE_lEElll.num_vgpr, 44
	.set _ZN2at6native12_GLOBAL__N_131fractional_max_pool3d_out_frameIN3c104HalfEEEvN5torch10headeronly6detail27GenericPackedTensorAccessorINS7_14TensorAccessorINS3_8ArrayRefIlEEKT_Lm4ENS6_16DefaultPtrTraitsElEENS_6detail16IndexBoundsCheckILm5ElEESD_Lm5ESE_lEENS8_INS9_ISB_SC_Lm4ESE_lEESI_SC_Lm5ESE_lEENS8_INS9_ISB_lLm4ESE_lEESI_lLm5ESE_lEENS8_INS9_ISB_SD_Lm2ESE_lEENSH_ILm3ElEESD_Lm3ESE_lEElll.num_agpr, 0
	.set _ZN2at6native12_GLOBAL__N_131fractional_max_pool3d_out_frameIN3c104HalfEEEvN5torch10headeronly6detail27GenericPackedTensorAccessorINS7_14TensorAccessorINS3_8ArrayRefIlEEKT_Lm4ENS6_16DefaultPtrTraitsElEENS_6detail16IndexBoundsCheckILm5ElEESD_Lm5ESE_lEENS8_INS9_ISB_SC_Lm4ESE_lEESI_SC_Lm5ESE_lEENS8_INS9_ISB_lLm4ESE_lEESI_lLm5ESE_lEENS8_INS9_ISB_SD_Lm2ESE_lEENSH_ILm3ElEESD_Lm3ESE_lEElll.numbered_sgpr, 30
	.set _ZN2at6native12_GLOBAL__N_131fractional_max_pool3d_out_frameIN3c104HalfEEEvN5torch10headeronly6detail27GenericPackedTensorAccessorINS7_14TensorAccessorINS3_8ArrayRefIlEEKT_Lm4ENS6_16DefaultPtrTraitsElEENS_6detail16IndexBoundsCheckILm5ElEESD_Lm5ESE_lEENS8_INS9_ISB_SC_Lm4ESE_lEESI_SC_Lm5ESE_lEENS8_INS9_ISB_lLm4ESE_lEESI_lLm5ESE_lEENS8_INS9_ISB_SD_Lm2ESE_lEENSH_ILm3ElEESD_Lm3ESE_lEElll.num_named_barrier, 0
	.set _ZN2at6native12_GLOBAL__N_131fractional_max_pool3d_out_frameIN3c104HalfEEEvN5torch10headeronly6detail27GenericPackedTensorAccessorINS7_14TensorAccessorINS3_8ArrayRefIlEEKT_Lm4ENS6_16DefaultPtrTraitsElEENS_6detail16IndexBoundsCheckILm5ElEESD_Lm5ESE_lEENS8_INS9_ISB_SC_Lm4ESE_lEESI_SC_Lm5ESE_lEENS8_INS9_ISB_lLm4ESE_lEESI_lLm5ESE_lEENS8_INS9_ISB_SD_Lm2ESE_lEENSH_ILm3ElEESD_Lm3ESE_lEElll.private_seg_size, 0
	.set _ZN2at6native12_GLOBAL__N_131fractional_max_pool3d_out_frameIN3c104HalfEEEvN5torch10headeronly6detail27GenericPackedTensorAccessorINS7_14TensorAccessorINS3_8ArrayRefIlEEKT_Lm4ENS6_16DefaultPtrTraitsElEENS_6detail16IndexBoundsCheckILm5ElEESD_Lm5ESE_lEENS8_INS9_ISB_SC_Lm4ESE_lEESI_SC_Lm5ESE_lEENS8_INS9_ISB_lLm4ESE_lEESI_lLm5ESE_lEENS8_INS9_ISB_SD_Lm2ESE_lEENSH_ILm3ElEESD_Lm3ESE_lEElll.uses_vcc, 1
	.set _ZN2at6native12_GLOBAL__N_131fractional_max_pool3d_out_frameIN3c104HalfEEEvN5torch10headeronly6detail27GenericPackedTensorAccessorINS7_14TensorAccessorINS3_8ArrayRefIlEEKT_Lm4ENS6_16DefaultPtrTraitsElEENS_6detail16IndexBoundsCheckILm5ElEESD_Lm5ESE_lEENS8_INS9_ISB_SC_Lm4ESE_lEESI_SC_Lm5ESE_lEENS8_INS9_ISB_lLm4ESE_lEESI_lLm5ESE_lEENS8_INS9_ISB_SD_Lm2ESE_lEENSH_ILm3ElEESD_Lm3ESE_lEElll.uses_flat_scratch, 0
	.set _ZN2at6native12_GLOBAL__N_131fractional_max_pool3d_out_frameIN3c104HalfEEEvN5torch10headeronly6detail27GenericPackedTensorAccessorINS7_14TensorAccessorINS3_8ArrayRefIlEEKT_Lm4ENS6_16DefaultPtrTraitsElEENS_6detail16IndexBoundsCheckILm5ElEESD_Lm5ESE_lEENS8_INS9_ISB_SC_Lm4ESE_lEESI_SC_Lm5ESE_lEENS8_INS9_ISB_lLm4ESE_lEESI_lLm5ESE_lEENS8_INS9_ISB_SD_Lm2ESE_lEENSH_ILm3ElEESD_Lm3ESE_lEElll.has_dyn_sized_stack, 0
	.set _ZN2at6native12_GLOBAL__N_131fractional_max_pool3d_out_frameIN3c104HalfEEEvN5torch10headeronly6detail27GenericPackedTensorAccessorINS7_14TensorAccessorINS3_8ArrayRefIlEEKT_Lm4ENS6_16DefaultPtrTraitsElEENS_6detail16IndexBoundsCheckILm5ElEESD_Lm5ESE_lEENS8_INS9_ISB_SC_Lm4ESE_lEESI_SC_Lm5ESE_lEENS8_INS9_ISB_lLm4ESE_lEESI_lLm5ESE_lEENS8_INS9_ISB_SD_Lm2ESE_lEENSH_ILm3ElEESD_Lm3ESE_lEElll.has_recursion, 0
	.set _ZN2at6native12_GLOBAL__N_131fractional_max_pool3d_out_frameIN3c104HalfEEEvN5torch10headeronly6detail27GenericPackedTensorAccessorINS7_14TensorAccessorINS3_8ArrayRefIlEEKT_Lm4ENS6_16DefaultPtrTraitsElEENS_6detail16IndexBoundsCheckILm5ElEESD_Lm5ESE_lEENS8_INS9_ISB_SC_Lm4ESE_lEESI_SC_Lm5ESE_lEENS8_INS9_ISB_lLm4ESE_lEESI_lLm5ESE_lEENS8_INS9_ISB_SD_Lm2ESE_lEENSH_ILm3ElEESD_Lm3ESE_lEElll.has_indirect_call, 0
	.section	.AMDGPU.csdata,"",@progbits
; Kernel info:
; codeLenInByte = 5004
; TotalNumSgprs: 32
; NumVgprs: 44
; ScratchSize: 0
; MemoryBound: 0
; FloatMode: 240
; IeeeMode: 1
; LDSByteSize: 0 bytes/workgroup (compile time only)
; SGPRBlocks: 0
; VGPRBlocks: 2
; NumSGPRsForWavesPerEU: 32
; NumVGPRsForWavesPerEU: 44
; NamedBarCnt: 0
; Occupancy: 16
; WaveLimiterHint : 1
; COMPUTE_PGM_RSRC2:SCRATCH_EN: 0
; COMPUTE_PGM_RSRC2:USER_SGPR: 2
; COMPUTE_PGM_RSRC2:TRAP_HANDLER: 0
; COMPUTE_PGM_RSRC2:TGID_X_EN: 1
; COMPUTE_PGM_RSRC2:TGID_Y_EN: 1
; COMPUTE_PGM_RSRC2:TGID_Z_EN: 1
; COMPUTE_PGM_RSRC2:TIDIG_COMP_CNT: 0
	.section	.text._ZN2at6native12_GLOBAL__N_131fractional_max_pool3d_out_frameIN3c108BFloat16EEEvN5torch10headeronly6detail27GenericPackedTensorAccessorINS7_14TensorAccessorINS3_8ArrayRefIlEEKT_Lm4ENS6_16DefaultPtrTraitsElEENS_6detail16IndexBoundsCheckILm5ElEESD_Lm5ESE_lEENS8_INS9_ISB_SC_Lm4ESE_lEESI_SC_Lm5ESE_lEENS8_INS9_ISB_lLm4ESE_lEESI_lLm5ESE_lEENS8_INS9_ISB_SD_Lm2ESE_lEENSH_ILm3ElEESD_Lm3ESE_lEElll,"axG",@progbits,_ZN2at6native12_GLOBAL__N_131fractional_max_pool3d_out_frameIN3c108BFloat16EEEvN5torch10headeronly6detail27GenericPackedTensorAccessorINS7_14TensorAccessorINS3_8ArrayRefIlEEKT_Lm4ENS6_16DefaultPtrTraitsElEENS_6detail16IndexBoundsCheckILm5ElEESD_Lm5ESE_lEENS8_INS9_ISB_SC_Lm4ESE_lEESI_SC_Lm5ESE_lEENS8_INS9_ISB_lLm4ESE_lEESI_lLm5ESE_lEENS8_INS9_ISB_SD_Lm2ESE_lEENSH_ILm3ElEESD_Lm3ESE_lEElll,comdat
	.globl	_ZN2at6native12_GLOBAL__N_131fractional_max_pool3d_out_frameIN3c108BFloat16EEEvN5torch10headeronly6detail27GenericPackedTensorAccessorINS7_14TensorAccessorINS3_8ArrayRefIlEEKT_Lm4ENS6_16DefaultPtrTraitsElEENS_6detail16IndexBoundsCheckILm5ElEESD_Lm5ESE_lEENS8_INS9_ISB_SC_Lm4ESE_lEESI_SC_Lm5ESE_lEENS8_INS9_ISB_lLm4ESE_lEESI_lLm5ESE_lEENS8_INS9_ISB_SD_Lm2ESE_lEENSH_ILm3ElEESD_Lm3ESE_lEElll ; -- Begin function _ZN2at6native12_GLOBAL__N_131fractional_max_pool3d_out_frameIN3c108BFloat16EEEvN5torch10headeronly6detail27GenericPackedTensorAccessorINS7_14TensorAccessorINS3_8ArrayRefIlEEKT_Lm4ENS6_16DefaultPtrTraitsElEENS_6detail16IndexBoundsCheckILm5ElEESD_Lm5ESE_lEENS8_INS9_ISB_SC_Lm4ESE_lEESI_SC_Lm5ESE_lEENS8_INS9_ISB_lLm4ESE_lEESI_lLm5ESE_lEENS8_INS9_ISB_SD_Lm2ESE_lEENSH_ILm3ElEESD_Lm3ESE_lEElll
	.p2align	8
	.type	_ZN2at6native12_GLOBAL__N_131fractional_max_pool3d_out_frameIN3c108BFloat16EEEvN5torch10headeronly6detail27GenericPackedTensorAccessorINS7_14TensorAccessorINS3_8ArrayRefIlEEKT_Lm4ENS6_16DefaultPtrTraitsElEENS_6detail16IndexBoundsCheckILm5ElEESD_Lm5ESE_lEENS8_INS9_ISB_SC_Lm4ESE_lEESI_SC_Lm5ESE_lEENS8_INS9_ISB_lLm4ESE_lEESI_lLm5ESE_lEENS8_INS9_ISB_SD_Lm2ESE_lEENSH_ILm3ElEESD_Lm3ESE_lEElll,@function
_ZN2at6native12_GLOBAL__N_131fractional_max_pool3d_out_frameIN3c108BFloat16EEEvN5torch10headeronly6detail27GenericPackedTensorAccessorINS7_14TensorAccessorINS3_8ArrayRefIlEEKT_Lm4ENS6_16DefaultPtrTraitsElEENS_6detail16IndexBoundsCheckILm5ElEESD_Lm5ESE_lEENS8_INS9_ISB_SC_Lm4ESE_lEESI_SC_Lm5ESE_lEENS8_INS9_ISB_lLm4ESE_lEESI_lLm5ESE_lEENS8_INS9_ISB_SD_Lm2ESE_lEENSH_ILm3ElEESD_Lm3ESE_lEElll: ; @_ZN2at6native12_GLOBAL__N_131fractional_max_pool3d_out_frameIN3c108BFloat16EEEvN5torch10headeronly6detail27GenericPackedTensorAccessorINS7_14TensorAccessorINS3_8ArrayRefIlEEKT_Lm4ENS6_16DefaultPtrTraitsElEENS_6detail16IndexBoundsCheckILm5ElEESD_Lm5ESE_lEENS8_INS9_ISB_SC_Lm4ESE_lEESI_SC_Lm5ESE_lEENS8_INS9_ISB_lLm4ESE_lEESI_lLm5ESE_lEENS8_INS9_ISB_SD_Lm2ESE_lEENSH_ILm3ElEESD_Lm3ESE_lEElll
; %bb.0:
	s_clause 0x2
	s_load_b32 s2, s[0:1], 0x164
	s_load_b128 s[4:7], s[0:1], 0x70
	s_load_b64 s[8:9], s[0:1], 0x80
	s_bfe_u32 s3, ttmp6, 0x4000c
	v_mov_b32_e32 v4, 0
	s_add_co_i32 s11, s3, 1
	s_and_b32 s10, ttmp6, 15
	s_mul_i32 s11, ttmp9, s11
	s_getreg_b32 s3, hwreg(HW_REG_IB_STS2, 6, 4)
	v_mov_b32_e32 v1, v4
	s_add_co_i32 s10, s10, s11
	s_wait_kmcnt 0x0
	s_and_b32 s2, s2, 0xffff
	s_cmp_eq_u32 s3, 0
	s_cselect_b32 s10, ttmp9, s10
	s_delay_alu instid0(SALU_CYCLE_1)
	v_mad_nc_u64_u32 v[2:3], s2, s10, v[0:1]
	s_mul_u64 s[10:11], s[8:9], s[6:7]
	s_mov_b32 s2, exec_lo
	s_mul_u64 s[12:13], s[10:11], s[4:5]
	s_delay_alu instid0(VALU_DEP_1) | instid1(SALU_CYCLE_1)
	v_cmpx_gt_i64_e64 s[12:13], v[2:3]
	s_cbranch_execz .LBB7_39
; %bb.1:
	v_or_b32_e32 v5, s11, v3
                                        ; implicit-def: $vgpr0_vgpr1
	s_delay_alu instid0(VALU_DEP_1) | instskip(SKIP_2) | instid1(SALU_CYCLE_1)
	v_cmp_ne_u64_e32 vcc_lo, 0, v[4:5]
	v_ashrrev_i32_e32 v4, 31, v3
	s_and_saveexec_b32 s2, vcc_lo
	s_xor_b32 s16, exec_lo, s2
	s_cbranch_execz .LBB7_3
; %bb.2:
	s_ashr_i32 s12, s11, 31
	s_mov_b32 s25, 0
	s_mov_b32 s13, s12
	v_dual_mov_b32 v5, v4 :: v_dual_mov_b32 v7, 0
	s_add_nc_u64 s[14:15], s[10:11], s[12:13]
	s_delay_alu instid0(SALU_CYCLE_1) | instskip(NEXT) | instid1(VALU_DEP_1)
	s_xor_b64 s[14:15], s[14:15], s[12:13]
	v_add_nc_u64_e32 v[0:1], v[2:3], v[4:5]
	s_cvt_f32_u32 s2, s14
	s_cvt_f32_u32 s11, s15
	s_sub_nc_u64 s[20:21], 0, s[14:15]
	v_dual_mov_b32 v9, v7 :: v_dual_mov_b32 v15, v7
	s_delay_alu instid0(SALU_CYCLE_1) | instskip(NEXT) | instid1(VALU_DEP_2)
	s_fmamk_f32 s2, s11, 0x4f800000, s2
	v_xor_b32_e32 v6, v0, v4
	v_xor_b32_e32 v8, v1, v4
	s_delay_alu instid0(SALU_CYCLE_1) | instskip(NEXT) | instid1(TRANS32_DEP_1)
	v_s_rcp_f32 s2, s2
	s_mul_f32 s2, s2, 0x5f7ffffc
	s_delay_alu instid0(SALU_CYCLE_3) | instskip(NEXT) | instid1(SALU_CYCLE_3)
	s_mul_f32 s11, s2, 0x2f800000
	s_trunc_f32 s11, s11
	s_delay_alu instid0(SALU_CYCLE_3) | instskip(SKIP_1) | instid1(SALU_CYCLE_2)
	s_fmamk_f32 s2, s11, 0xcf800000, s2
	s_cvt_u32_f32 s19, s11
	s_cvt_u32_f32 s18, s2
	s_delay_alu instid0(SALU_CYCLE_3) | instskip(NEXT) | instid1(SALU_CYCLE_1)
	s_mul_u64 s[22:23], s[20:21], s[18:19]
	s_mul_hi_u32 s27, s18, s23
	s_mul_i32 s26, s18, s23
	s_mul_hi_u32 s24, s18, s22
	s_mul_i32 s11, s19, s22
	s_add_nc_u64 s[26:27], s[24:25], s[26:27]
	s_mul_hi_u32 s2, s19, s22
	s_mul_hi_u32 s13, s19, s23
	s_add_co_u32 s11, s26, s11
	s_add_co_ci_u32 s24, s27, s2
	s_mul_i32 s22, s19, s23
	s_add_co_ci_u32 s23, s13, 0
	s_delay_alu instid0(SALU_CYCLE_1) | instskip(NEXT) | instid1(SALU_CYCLE_1)
	s_add_nc_u64 s[22:23], s[24:25], s[22:23]
	s_add_co_u32 s18, s18, s22
	s_cselect_b32 s2, -1, 0
	s_delay_alu instid0(SALU_CYCLE_1) | instskip(SKIP_1) | instid1(SALU_CYCLE_1)
	s_cmp_lg_u32 s2, 0
	s_add_co_ci_u32 s19, s19, s23
	s_mul_u64 s[20:21], s[20:21], s[18:19]
	s_delay_alu instid0(SALU_CYCLE_1)
	s_mul_hi_u32 s23, s18, s21
	s_mul_i32 s22, s18, s21
	s_mul_hi_u32 s24, s18, s20
	s_mul_i32 s11, s19, s20
	s_add_nc_u64 s[22:23], s[24:25], s[22:23]
	s_mul_hi_u32 s2, s19, s20
	s_mul_hi_u32 s13, s19, s21
	s_add_co_u32 s11, s22, s11
	s_add_co_ci_u32 s24, s23, s2
	s_mul_i32 s20, s19, s21
	s_add_co_ci_u32 s21, s13, 0
	s_delay_alu instid0(SALU_CYCLE_1) | instskip(NEXT) | instid1(SALU_CYCLE_1)
	s_add_nc_u64 s[20:21], s[24:25], s[20:21]
	s_add_co_u32 s2, s18, s20
	s_cselect_b32 s11, -1, 0
	v_nop
	v_mul_hi_u32 v14, v6, s2
	s_cmp_lg_u32 s11, 0
	s_add_co_ci_u32 s24, s19, s21
	s_mov_b64 s[18:19], 0xffffffff
	v_mul_u64_e32 v[10:11], s[24:25], v[6:7]
	s_and_b64 s[18:19], s[2:3], s[18:19]
	v_mul_u64_e32 v[12:13], s[24:25], v[8:9]
	v_mul_u64_e32 v[0:1], s[18:19], v[8:9]
	s_delay_alu instid0(VALU_DEP_3) | instskip(NEXT) | instid1(VALU_DEP_1)
	v_add_nc_u64_e32 v[10:11], v[14:15], v[10:11]
	v_add_co_u32 v0, vcc_lo, v10, v0
	s_delay_alu instid0(VALU_DEP_2) | instskip(SKIP_1) | instid1(VALU_DEP_1)
	v_add_co_ci_u32_e32 v14, vcc_lo, v11, v1, vcc_lo
	v_add_co_ci_u32_e32 v13, vcc_lo, 0, v13, vcc_lo
	v_add_nc_u64_e32 v[0:1], v[14:15], v[12:13]
	s_delay_alu instid0(VALU_DEP_1) | instskip(NEXT) | instid1(VALU_DEP_1)
	v_mul_u64_e32 v[10:11], s[14:15], v[0:1]
	v_sub_nc_u32_e32 v5, v8, v11
	s_delay_alu instid0(VALU_DEP_2) | instskip(NEXT) | instid1(VALU_DEP_1)
	v_sub_co_u32 v6, vcc_lo, v6, v10
	v_sub_co_ci_u32_e64 v10, null, v8, v11, vcc_lo
	s_delay_alu instid0(VALU_DEP_3) | instskip(NEXT) | instid1(VALU_DEP_3)
	v_subrev_co_ci_u32_e64 v5, null, s15, v5, vcc_lo
	v_sub_co_u32 v7, s2, v6, s14
	s_delay_alu instid0(VALU_DEP_1) | instskip(NEXT) | instid1(VALU_DEP_2)
	v_subrev_co_ci_u32_e64 v5, null, 0, v5, s2
	v_cmp_le_u32_e32 vcc_lo, s14, v7
	v_cndmask_b32_e64 v7, 0, -1, vcc_lo
	s_delay_alu instid0(VALU_DEP_3)
	v_cmp_le_u32_e32 vcc_lo, s15, v5
	v_cndmask_b32_e64 v8, 0, -1, vcc_lo
	v_cmp_le_u32_e32 vcc_lo, s14, v6
	v_cndmask_b32_e64 v11, 0, -1, vcc_lo
	;; [unrolled: 2-line block ×3, first 2 shown]
	v_cmp_eq_u32_e32 vcc_lo, s15, v5
	v_cndmask_b32_e32 v5, v8, v7, vcc_lo
	v_cmp_eq_u32_e32 vcc_lo, s15, v10
	v_add_nc_u64_e32 v[6:7], 2, v[0:1]
	v_add_nc_u64_e32 v[8:9], 1, v[0:1]
	v_cndmask_b32_e32 v10, v12, v11, vcc_lo
	v_cmp_ne_u32_e32 vcc_lo, 0, v5
	s_delay_alu instid0(VALU_DEP_2) | instskip(NEXT) | instid1(VALU_DEP_4)
	v_cmp_ne_u32_e64 s2, 0, v10
	v_dual_cndmask_b32 v5, v9, v7, vcc_lo :: v_dual_cndmask_b32 v7, v8, v6, vcc_lo
	s_delay_alu instid0(VALU_DEP_1) | instskip(NEXT) | instid1(VALU_DEP_1)
	v_dual_cndmask_b32 v0, v0, v7, s2 :: v_dual_bitop2_b32 v6, s12, v4 bitop3:0x14
	v_dual_cndmask_b32 v1, v1, v5, s2 :: v_dual_mov_b32 v7, v6
	s_delay_alu instid0(VALU_DEP_2) | instskip(NEXT) | instid1(VALU_DEP_2)
	v_xor_b32_e32 v0, v0, v6
	v_xor_b32_e32 v1, v1, v6
	s_delay_alu instid0(VALU_DEP_1)
	v_sub_nc_u64_e32 v[0:1], v[0:1], v[6:7]
.LBB7_3:
	s_and_not1_saveexec_b32 s2, s16
	s_cbranch_execz .LBB7_5
; %bb.4:
	v_cvt_f32_u32_e32 v0, s10
	s_sub_co_i32 s11, 0, s10
	s_delay_alu instid0(VALU_DEP_1) | instskip(SKIP_1) | instid1(TRANS32_DEP_1)
	v_rcp_iflag_f32_e32 v0, v0
	v_nop
	v_mul_f32_e32 v0, 0x4f7ffffe, v0
	s_delay_alu instid0(VALU_DEP_1) | instskip(NEXT) | instid1(VALU_DEP_1)
	v_cvt_u32_f32_e32 v0, v0
	v_mul_lo_u32 v1, s11, v0
	s_delay_alu instid0(VALU_DEP_1) | instskip(NEXT) | instid1(VALU_DEP_1)
	v_mul_hi_u32 v1, v0, v1
	v_add_nc_u32_e32 v0, v0, v1
	s_delay_alu instid0(VALU_DEP_1) | instskip(NEXT) | instid1(VALU_DEP_1)
	v_mul_hi_u32 v0, v2, v0
	v_mul_lo_u32 v1, v0, s10
	s_delay_alu instid0(VALU_DEP_1) | instskip(NEXT) | instid1(VALU_DEP_1)
	v_dual_add_nc_u32 v5, 1, v0 :: v_dual_sub_nc_u32 v1, v2, v1
	v_subrev_nc_u32_e32 v6, s10, v1
	v_cmp_le_u32_e32 vcc_lo, s10, v1
	s_delay_alu instid0(VALU_DEP_2) | instskip(NEXT) | instid1(VALU_DEP_1)
	v_dual_cndmask_b32 v1, v1, v6 :: v_dual_cndmask_b32 v0, v0, v5
	v_cmp_le_u32_e32 vcc_lo, s10, v1
	s_delay_alu instid0(VALU_DEP_2) | instskip(NEXT) | instid1(VALU_DEP_1)
	v_dual_add_nc_u32 v5, 1, v0 :: v_dual_mov_b32 v1, 0
	v_cndmask_b32_e32 v0, v0, v5, vcc_lo
.LBB7_5:
	s_or_b32 exec_lo, exec_lo, s2
	v_dual_mov_b32 v6, 0 :: v_dual_bitop2_b32 v7, s9, v3 bitop3:0x54
                                        ; implicit-def: $vgpr8_vgpr9
	s_mov_b32 s2, exec_lo
	s_delay_alu instid0(VALU_DEP_1)
	v_cmpx_ne_u64_e32 0, v[6:7]
	s_xor_b32 s14, exec_lo, s2
	s_cbranch_execz .LBB7_7
; %bb.6:
	s_ashr_i32 s10, s9, 31
	s_mov_b32 s23, 0
	s_mov_b32 s11, s10
	v_dual_mov_b32 v5, v4 :: v_dual_mov_b32 v11, v6
	s_add_nc_u64 s[12:13], s[8:9], s[10:11]
	v_mov_b32_e32 v13, v6
	s_xor_b64 s[12:13], s[12:13], s[10:11]
	s_delay_alu instid0(VALU_DEP_2) | instskip(SKIP_4) | instid1(SALU_CYCLE_1)
	v_add_nc_u64_e32 v[8:9], v[2:3], v[4:5]
	s_cvt_f32_u32 s2, s12
	s_cvt_f32_u32 s11, s13
	s_sub_nc_u64 s[18:19], 0, s[12:13]
	v_mov_b32_e32 v19, v6
	s_fmamk_f32 s2, s11, 0x4f800000, s2
	s_delay_alu instid0(VALU_DEP_2) | instskip(SKIP_1) | instid1(SALU_CYCLE_1)
	v_xor_b32_e32 v10, v8, v4
	v_dual_mov_b32 v7, v6 :: v_dual_bitop2_b32 v12, v9, v4 bitop3:0x14
	v_s_rcp_f32 s2, s2
	v_xor_b32_e32 v4, s10, v4
	s_delay_alu instid0(TRANS32_DEP_1) | instskip(NEXT) | instid1(SALU_CYCLE_3)
	s_mul_f32 s2, s2, 0x5f7ffffc
	s_mul_f32 s11, s2, 0x2f800000
	s_delay_alu instid0(SALU_CYCLE_3) | instskip(NEXT) | instid1(SALU_CYCLE_3)
	s_trunc_f32 s11, s11
	s_fmamk_f32 s2, s11, 0xcf800000, s2
	s_cvt_u32_f32 s17, s11
	s_delay_alu instid0(SALU_CYCLE_2) | instskip(NEXT) | instid1(SALU_CYCLE_3)
	s_cvt_u32_f32 s16, s2
	s_mul_u64 s[20:21], s[18:19], s[16:17]
	s_delay_alu instid0(SALU_CYCLE_1)
	s_mul_hi_u32 s25, s16, s21
	s_mul_i32 s24, s16, s21
	s_mul_hi_u32 s22, s16, s20
	s_mul_i32 s11, s17, s20
	s_add_nc_u64 s[24:25], s[22:23], s[24:25]
	s_mul_hi_u32 s2, s17, s20
	s_mul_hi_u32 s15, s17, s21
	s_add_co_u32 s11, s24, s11
	s_add_co_ci_u32 s22, s25, s2
	s_mul_i32 s20, s17, s21
	s_add_co_ci_u32 s21, s15, 0
	s_delay_alu instid0(SALU_CYCLE_1) | instskip(NEXT) | instid1(SALU_CYCLE_1)
	s_add_nc_u64 s[20:21], s[22:23], s[20:21]
	s_add_co_u32 s16, s16, s20
	s_cselect_b32 s2, -1, 0
	s_delay_alu instid0(SALU_CYCLE_1) | instskip(SKIP_1) | instid1(SALU_CYCLE_1)
	s_cmp_lg_u32 s2, 0
	s_add_co_ci_u32 s17, s17, s21
	s_mul_u64 s[18:19], s[18:19], s[16:17]
	s_delay_alu instid0(SALU_CYCLE_1)
	s_mul_hi_u32 s21, s16, s19
	s_mul_i32 s20, s16, s19
	s_mul_hi_u32 s22, s16, s18
	s_mul_i32 s11, s17, s18
	s_add_nc_u64 s[20:21], s[22:23], s[20:21]
	s_mul_hi_u32 s2, s17, s18
	s_mul_hi_u32 s15, s17, s19
	s_add_co_u32 s11, s20, s11
	s_add_co_ci_u32 s22, s21, s2
	s_mul_i32 s18, s17, s19
	s_add_co_ci_u32 s19, s15, 0
	s_delay_alu instid0(SALU_CYCLE_1) | instskip(NEXT) | instid1(SALU_CYCLE_1)
	s_add_nc_u64 s[18:19], s[22:23], s[18:19]
	s_add_co_u32 s2, s16, s18
	s_cselect_b32 s11, -1, 0
	v_mul_hi_u32 v18, v10, s2
	s_cmp_lg_u32 s11, 0
	s_add_co_ci_u32 s22, s17, s19
	s_mov_b64 s[16:17], 0xffffffff
	v_mul_u64_e32 v[14:15], s[22:23], v[10:11]
	s_and_b64 s[16:17], s[2:3], s[16:17]
	v_mul_u64_e32 v[16:17], s[22:23], v[12:13]
	v_mul_u64_e32 v[8:9], s[16:17], v[12:13]
	s_delay_alu instid0(VALU_DEP_3) | instskip(NEXT) | instid1(VALU_DEP_1)
	v_add_nc_u64_e32 v[14:15], v[18:19], v[14:15]
	v_add_co_u32 v5, vcc_lo, v14, v8
	s_delay_alu instid0(VALU_DEP_2) | instskip(SKIP_1) | instid1(VALU_DEP_1)
	v_add_co_ci_u32_e32 v6, vcc_lo, v15, v9, vcc_lo
	v_add_co_ci_u32_e32 v17, vcc_lo, 0, v17, vcc_lo
	v_add_nc_u64_e32 v[6:7], v[6:7], v[16:17]
	s_delay_alu instid0(VALU_DEP_1) | instskip(NEXT) | instid1(VALU_DEP_1)
	v_mul_u64_e32 v[8:9], s[12:13], v[6:7]
	v_sub_nc_u32_e32 v5, v12, v9
	s_delay_alu instid0(VALU_DEP_2) | instskip(NEXT) | instid1(VALU_DEP_1)
	v_sub_co_u32 v8, vcc_lo, v10, v8
	v_sub_co_ci_u32_e64 v12, null, v12, v9, vcc_lo
	s_delay_alu instid0(VALU_DEP_3) | instskip(NEXT) | instid1(VALU_DEP_3)
	v_subrev_co_ci_u32_e64 v5, null, s13, v5, vcc_lo
	v_sub_co_u32 v10, s2, v8, s12
	s_delay_alu instid0(VALU_DEP_1) | instskip(NEXT) | instid1(VALU_DEP_2)
	v_subrev_co_ci_u32_e64 v5, null, 0, v5, s2
	v_cmp_le_u32_e32 vcc_lo, s12, v10
	v_cndmask_b32_e64 v9, 0, -1, vcc_lo
	s_delay_alu instid0(VALU_DEP_3)
	v_cmp_le_u32_e32 vcc_lo, s13, v5
	v_cndmask_b32_e64 v10, 0, -1, vcc_lo
	v_cmp_le_u32_e32 vcc_lo, s12, v8
	v_cndmask_b32_e64 v13, 0, -1, vcc_lo
	;; [unrolled: 2-line block ×3, first 2 shown]
	v_cmp_eq_u32_e32 vcc_lo, s13, v5
	v_cndmask_b32_e32 v5, v10, v9, vcc_lo
	v_cmp_eq_u32_e32 vcc_lo, s13, v12
	v_add_nc_u64_e32 v[8:9], 2, v[6:7]
	v_add_nc_u64_e32 v[10:11], 1, v[6:7]
	v_cndmask_b32_e32 v12, v14, v13, vcc_lo
	v_cmp_ne_u32_e32 vcc_lo, 0, v5
	s_delay_alu instid0(VALU_DEP_2) | instskip(NEXT) | instid1(VALU_DEP_4)
	v_cmp_ne_u32_e64 s2, 0, v12
	v_dual_cndmask_b32 v8, v10, v8 :: v_dual_cndmask_b32 v5, v11, v9
	s_delay_alu instid0(VALU_DEP_1) | instskip(NEXT) | instid1(VALU_DEP_1)
	v_dual_cndmask_b32 v6, v6, v8, s2 :: v_dual_cndmask_b32 v7, v7, v5, s2
	v_dual_mov_b32 v5, v4 :: v_dual_bitop2_b32 v6, v6, v4 bitop3:0x14
	s_delay_alu instid0(VALU_DEP_2) | instskip(NEXT) | instid1(VALU_DEP_1)
	v_xor_b32_e32 v7, v7, v4
	v_sub_nc_u64_e32 v[8:9], v[6:7], v[4:5]
.LBB7_7:
	s_and_not1_saveexec_b32 s2, s14
	s_cbranch_execz .LBB7_9
; %bb.8:
	v_cvt_f32_u32_e32 v4, s8
	s_sub_co_i32 s10, 0, s8
	v_mov_b32_e32 v9, 0
	s_delay_alu instid0(VALU_DEP_2) | instskip(SKIP_1) | instid1(TRANS32_DEP_1)
	v_rcp_iflag_f32_e32 v4, v4
	v_nop
	v_mul_f32_e32 v4, 0x4f7ffffe, v4
	s_delay_alu instid0(VALU_DEP_1) | instskip(NEXT) | instid1(VALU_DEP_1)
	v_cvt_u32_f32_e32 v4, v4
	v_mul_lo_u32 v5, s10, v4
	s_delay_alu instid0(VALU_DEP_1) | instskip(NEXT) | instid1(VALU_DEP_1)
	v_mul_hi_u32 v5, v4, v5
	v_add_nc_u32_e32 v4, v4, v5
	s_delay_alu instid0(VALU_DEP_1) | instskip(NEXT) | instid1(VALU_DEP_1)
	v_mul_hi_u32 v4, v2, v4
	v_mul_lo_u32 v5, v4, s8
	s_delay_alu instid0(VALU_DEP_1) | instskip(NEXT) | instid1(VALU_DEP_1)
	v_dual_add_nc_u32 v6, 1, v4 :: v_dual_sub_nc_u32 v5, v2, v5
	v_subrev_nc_u32_e32 v7, s8, v5
	v_cmp_le_u32_e32 vcc_lo, s8, v5
	s_delay_alu instid0(VALU_DEP_2) | instskip(NEXT) | instid1(VALU_DEP_1)
	v_dual_cndmask_b32 v5, v5, v7 :: v_dual_cndmask_b32 v4, v4, v6
	v_cmp_le_u32_e32 vcc_lo, s8, v5
	s_delay_alu instid0(VALU_DEP_2) | instskip(NEXT) | instid1(VALU_DEP_1)
	v_add_nc_u32_e32 v6, 1, v4
	v_cndmask_b32_e32 v8, v4, v6, vcc_lo
.LBB7_9:
	s_or_b32 exec_lo, exec_lo, s2
	s_delay_alu instid0(VALU_DEP_1) | instskip(SKIP_1) | instid1(VALU_DEP_1)
	v_dual_mov_b32 v6, 0 :: v_dual_bitop2_b32 v7, s7, v9 bitop3:0x54
                                        ; implicit-def: $vgpr4_vgpr5
	s_mov_b32 s2, exec_lo
	v_cmpx_ne_u64_e32 0, v[6:7]
	s_xor_b32 s12, exec_lo, s2
	s_cbranch_execz .LBB7_11
; %bb.10:
	s_ashr_i32 s10, s7, 31
	s_mov_b32 s21, 0
	s_mov_b32 s11, s10
	v_dual_mov_b32 v13, v6 :: v_dual_ashrrev_i32 v4, 31, v9
	s_add_nc_u64 s[14:15], s[6:7], s[10:11]
	v_dual_mov_b32 v21, v6 :: v_dual_mov_b32 v7, v6
	s_xor_b64 s[10:11], s[14:15], s[10:11]
	s_delay_alu instid0(VALU_DEP_2) | instskip(SKIP_3) | instid1(VALU_DEP_1)
	v_mov_b32_e32 v5, v4
	s_cvt_f32_u32 s2, s10
	s_cvt_f32_u32 s13, s11
	s_sub_nc_u64 s[16:17], 0, s[10:11]
	v_add_nc_u64_e32 v[10:11], v[8:9], v[4:5]
	s_delay_alu instid0(SALU_CYCLE_1) | instskip(SKIP_1) | instid1(SALU_CYCLE_2)
	s_fmamk_f32 s2, s13, 0x4f800000, s2
	v_mov_b32_e32 v15, v6
	v_s_rcp_f32 s2, s2
	s_delay_alu instid0(VALU_DEP_2) | instskip(NEXT) | instid1(VALU_DEP_3)
	v_xor_b32_e32 v12, v10, v4
	v_xor_b32_e32 v14, v11, v4
	s_delay_alu instid0(TRANS32_DEP_1) | instskip(NEXT) | instid1(SALU_CYCLE_3)
	s_mul_f32 s2, s2, 0x5f7ffffc
	s_mul_f32 s13, s2, 0x2f800000
	s_delay_alu instid0(SALU_CYCLE_3) | instskip(NEXT) | instid1(SALU_CYCLE_3)
	s_trunc_f32 s13, s13
	s_fmamk_f32 s2, s13, 0xcf800000, s2
	s_cvt_u32_f32 s15, s13
	s_delay_alu instid0(SALU_CYCLE_2) | instskip(NEXT) | instid1(SALU_CYCLE_3)
	s_cvt_u32_f32 s14, s2
	s_mul_u64 s[18:19], s[16:17], s[14:15]
	s_delay_alu instid0(SALU_CYCLE_1)
	s_mul_hi_u32 s23, s14, s19
	s_mul_i32 s22, s14, s19
	s_mul_hi_u32 s20, s14, s18
	s_mul_i32 s13, s15, s18
	s_add_nc_u64 s[22:23], s[20:21], s[22:23]
	s_mul_hi_u32 s2, s15, s18
	s_mul_hi_u32 s24, s15, s19
	s_add_co_u32 s13, s22, s13
	s_add_co_ci_u32 s20, s23, s2
	s_mul_i32 s18, s15, s19
	s_add_co_ci_u32 s19, s24, 0
	s_delay_alu instid0(SALU_CYCLE_1) | instskip(NEXT) | instid1(SALU_CYCLE_1)
	s_add_nc_u64 s[18:19], s[20:21], s[18:19]
	s_add_co_u32 s14, s14, s18
	s_cselect_b32 s2, -1, 0
	s_delay_alu instid0(SALU_CYCLE_1) | instskip(SKIP_1) | instid1(SALU_CYCLE_1)
	s_cmp_lg_u32 s2, 0
	s_add_co_ci_u32 s15, s15, s19
	s_mul_u64 s[16:17], s[16:17], s[14:15]
	s_delay_alu instid0(SALU_CYCLE_1)
	s_mul_hi_u32 s19, s14, s17
	s_mul_i32 s18, s14, s17
	s_mul_hi_u32 s20, s14, s16
	s_mul_i32 s13, s15, s16
	s_add_nc_u64 s[18:19], s[20:21], s[18:19]
	s_mul_hi_u32 s2, s15, s16
	s_mul_hi_u32 s22, s15, s17
	s_add_co_u32 s13, s18, s13
	s_add_co_ci_u32 s20, s19, s2
	s_mul_i32 s16, s15, s17
	s_add_co_ci_u32 s17, s22, 0
	s_delay_alu instid0(SALU_CYCLE_1) | instskip(NEXT) | instid1(SALU_CYCLE_1)
	s_add_nc_u64 s[16:17], s[20:21], s[16:17]
	s_add_co_u32 s2, s14, s16
	s_cselect_b32 s13, -1, 0
	v_mul_hi_u32 v20, v12, s2
	s_cmp_lg_u32 s13, 0
	s_add_co_ci_u32 s20, s15, s17
	s_mov_b64 s[14:15], 0xffffffff
	v_mul_u64_e32 v[16:17], s[20:21], v[12:13]
	s_and_b64 s[14:15], s[2:3], s[14:15]
	v_mul_u64_e32 v[18:19], s[20:21], v[14:15]
	v_mul_u64_e32 v[10:11], s[14:15], v[14:15]
	s_delay_alu instid0(VALU_DEP_3) | instskip(NEXT) | instid1(VALU_DEP_1)
	v_add_nc_u64_e32 v[16:17], v[20:21], v[16:17]
	v_add_co_u32 v6, vcc_lo, v16, v10
	s_delay_alu instid0(VALU_DEP_2) | instskip(SKIP_1) | instid1(VALU_DEP_1)
	v_add_co_ci_u32_e32 v6, vcc_lo, v17, v11, vcc_lo
	v_add_co_ci_u32_e32 v19, vcc_lo, 0, v19, vcc_lo
	v_add_nc_u64_e32 v[6:7], v[6:7], v[18:19]
	s_delay_alu instid0(VALU_DEP_1) | instskip(NEXT) | instid1(VALU_DEP_1)
	v_mul_u64_e32 v[6:7], s[10:11], v[6:7]
	v_sub_nc_u32_e32 v10, v14, v7
	s_delay_alu instid0(VALU_DEP_2) | instskip(NEXT) | instid1(VALU_DEP_1)
	v_sub_co_u32 v6, vcc_lo, v12, v6
	v_sub_co_ci_u32_e64 v7, null, v14, v7, vcc_lo
	s_delay_alu instid0(VALU_DEP_3) | instskip(NEXT) | instid1(VALU_DEP_3)
	v_subrev_co_ci_u32_e64 v10, null, s11, v10, vcc_lo
	v_sub_co_u32 v11, vcc_lo, v6, s10
	v_cmp_le_u32_e64 s2, s10, v6
	s_delay_alu instid0(VALU_DEP_3) | instskip(SKIP_1) | instid1(VALU_DEP_3)
	v_subrev_co_ci_u32_e64 v12, null, 0, v10, vcc_lo
	v_subrev_co_ci_u32_e64 v10, null, s11, v10, vcc_lo
	v_cndmask_b32_e64 v13, 0, -1, s2
	v_cmp_le_u32_e64 s2, s10, v11
	v_cmp_le_u32_e32 vcc_lo, s11, v7
	s_delay_alu instid0(VALU_DEP_2) | instskip(SKIP_3) | instid1(VALU_DEP_3)
	v_cndmask_b32_e64 v14, 0, -1, s2
	v_cmp_le_u32_e64 s2, s11, v12
	v_cndmask_b32_e64 v16, 0, -1, vcc_lo
	v_cmp_eq_u32_e32 vcc_lo, s11, v12
	v_cndmask_b32_e64 v15, 0, -1, s2
	v_cmp_eq_u32_e64 s2, s11, v7
	s_delay_alu instid0(VALU_DEP_2) | instskip(SKIP_1) | instid1(VALU_DEP_1)
	v_cndmask_b32_e32 v14, v15, v14, vcc_lo
	v_sub_co_u32 v15, vcc_lo, v11, s10
	v_subrev_co_ci_u32_e64 v10, null, 0, v10, vcc_lo
	s_delay_alu instid0(VALU_DEP_3) | instskip(NEXT) | instid1(VALU_DEP_3)
	v_cmp_ne_u32_e32 vcc_lo, 0, v14
	v_dual_cndmask_b32 v13, v16, v13, s2 :: v_dual_cndmask_b32 v11, v11, v15, vcc_lo
	s_delay_alu instid0(VALU_DEP_3) | instskip(NEXT) | instid1(VALU_DEP_2)
	v_cndmask_b32_e32 v10, v12, v10, vcc_lo
	v_cmp_ne_u32_e32 vcc_lo, 0, v13
	s_delay_alu instid0(VALU_DEP_2) | instskip(NEXT) | instid1(VALU_DEP_1)
	v_dual_cndmask_b32 v6, v6, v11 :: v_dual_cndmask_b32 v7, v7, v10
	v_xor_b32_e32 v6, v6, v4
	s_delay_alu instid0(VALU_DEP_2) | instskip(NEXT) | instid1(VALU_DEP_1)
	v_xor_b32_e32 v7, v7, v4
	v_sub_nc_u64_e32 v[4:5], v[6:7], v[4:5]
.LBB7_11:
	s_and_not1_saveexec_b32 s2, s12
	s_cbranch_execz .LBB7_13
; %bb.12:
	v_cvt_f32_u32_e32 v4, s6
	s_sub_co_i32 s10, 0, s6
	s_delay_alu instid0(VALU_DEP_1) | instskip(SKIP_1) | instid1(TRANS32_DEP_1)
	v_rcp_iflag_f32_e32 v4, v4
	v_nop
	v_mul_f32_e32 v4, 0x4f7ffffe, v4
	s_delay_alu instid0(VALU_DEP_1) | instskip(NEXT) | instid1(VALU_DEP_1)
	v_cvt_u32_f32_e32 v4, v4
	v_mul_lo_u32 v5, s10, v4
	s_delay_alu instid0(VALU_DEP_1) | instskip(NEXT) | instid1(VALU_DEP_1)
	v_mul_hi_u32 v5, v4, v5
	v_add_nc_u32_e32 v4, v4, v5
	s_delay_alu instid0(VALU_DEP_1) | instskip(NEXT) | instid1(VALU_DEP_1)
	v_mul_hi_u32 v4, v8, v4
	v_mul_lo_u32 v4, v4, s6
	s_delay_alu instid0(VALU_DEP_1) | instskip(NEXT) | instid1(VALU_DEP_1)
	v_sub_nc_u32_e32 v4, v8, v4
	v_subrev_nc_u32_e32 v5, s6, v4
	v_cmp_le_u32_e32 vcc_lo, s6, v4
	s_delay_alu instid0(VALU_DEP_2) | instskip(NEXT) | instid1(VALU_DEP_1)
	v_cndmask_b32_e32 v4, v4, v5, vcc_lo
	v_subrev_nc_u32_e32 v5, s6, v4
	v_cmp_le_u32_e32 vcc_lo, s6, v4
	s_delay_alu instid0(VALU_DEP_2)
	v_dual_cndmask_b32 v4, v4, v5 :: v_dual_mov_b32 v5, 0
.LBB7_13:
	s_or_b32 exec_lo, exec_lo, s2
	s_clause 0x4
	s_load_b64 s[20:21], s[0:1], 0x150
	s_load_b128 s[12:15], s[0:1], 0x140
	s_load_b128 s[24:27], s[0:1], 0x128
	s_load_b64 s[10:11], s[0:1], 0x108
	s_load_b64 s[22:23], s[0:1], 0x18
	s_bfe_u32 s2, ttmp6, 0x40014
	s_bfe_u32 s17, ttmp6, 0x40010
	s_lshr_b32 s16, ttmp7, 16
	s_add_co_i32 s2, s2, 1
	s_and_b32 s28, ttmp7, 0xffff
	s_add_co_i32 s17, s17, 1
	s_mul_i32 s2, s16, s2
	s_bfe_u32 s18, ttmp6, 0x40008
	s_mul_i32 s17, s28, s17
	s_bfe_u32 s19, ttmp6, 0x40004
	s_add_co_i32 s18, s18, s2
	s_add_co_i32 s29, s19, s17
	s_cmp_eq_u32 s3, 0
	s_mov_b32 s17, 0
	s_cselect_b32 s18, s16, s18
	s_mov_b32 s19, s17
	s_cselect_b32 s16, s28, s29
	s_wait_kmcnt 0x0
	s_mul_u64 s[2:3], s[24:25], s[18:19]
	s_delay_alu instid0(SALU_CYCLE_1) | instskip(NEXT) | instid1(SALU_CYCLE_1)
	s_lshl_b64 s[2:3], s[2:3], 1
	s_add_nc_u64 s[24:25], s[10:11], s[2:3]
	s_sub_nc_u64 s[10:11], s[22:23], s[12:13]
	s_add_nc_u64 s[2:3], s[4:5], -1
	v_mov_b64_e32 v[6:7], s[10:11]
	s_mul_u64 s[4:5], s[26:27], s[16:17]
	s_mov_b32 s22, exec_lo
	s_lshl_b64 s[4:5], s[4:5], 1
	s_delay_alu instid0(SALU_CYCLE_1)
	s_add_nc_u64 s[4:5], s[24:25], s[4:5]
	v_cmpx_ne_u64_e64 s[2:3], v[0:1]
	s_cbranch_execz .LBB7_15
; %bb.14:
	s_xor_b32 s23, s10, s11
	s_xor_b32 s25, s2, s3
	s_cls_i32 s24, s11
	s_ashr_i32 s23, s23, 31
	s_cls_i32 s26, s3
	s_ashr_i32 s25, s25, 31
	s_add_co_i32 s24, s24, -1
	s_add_co_i32 s23, s23, 32
	s_add_co_i32 s26, s26, -1
	s_add_co_i32 s25, s25, 32
	s_min_u32 s23, s24, s23
	s_min_u32 s24, s26, s25
	s_lshl_b64 s[10:11], s[10:11], s23
	s_lshl_b64 s[2:3], s[2:3], s24
	s_min_u32 s10, s10, 1
	s_min_u32 s2, s2, 1
	s_or_b32 s10, s11, s10
	s_or_b32 s2, s3, s2
	s_cvt_f32_i32 s3, s10
	s_cvt_f32_i32 s2, s2
	s_sub_co_i32 s10, 32, s23
	s_sub_co_i32 s11, 32, s24
	v_ldexp_f32 v10, s3, s10
	v_ldexp_f32 v11, s2, s11
	v_cls_i32_e32 v13, v1
	s_load_u16 s2, s[4:5], 0x0
	s_delay_alu instid0(VALU_DEP_2) | instskip(SKIP_1) | instid1(VALU_DEP_2)
	v_div_scale_f32 v7, null, v11, v11, v10
	v_div_scale_f32 v15, vcc_lo, v10, v11, v10
	v_rcp_f32_e32 v12, v7
	v_xor_b32_e32 v14, 0x80000000, v7
	s_delay_alu instid0(TRANS32_DEP_1) | instid1(VALU_DEP_1)
	v_fma_f32 v7, v14, v12, 1.0
	s_delay_alu instid0(VALU_DEP_1) | instskip(NEXT) | instid1(VALU_DEP_1)
	v_dual_fmac_f32 v12, v7, v12 :: v_dual_bitop2_b32 v6, v0, v1 bitop3:0x14
	v_ashrrev_i32_e32 v6, 31, v6
	s_wait_kmcnt 0x0
	s_lshl_b32 s2, s2, 16
	s_delay_alu instid0(VALU_DEP_1) | instskip(NEXT) | instid1(VALU_DEP_1)
	v_dual_mul_f32 v16, v15, v12 :: v_dual_add_nc_u32 v6, 32, v6
	v_fma_f32 v17, v14, v16, v15
	s_delay_alu instid0(VALU_DEP_2) | instskip(NEXT) | instid1(VALU_DEP_2)
	v_add_min_u32_e64 v13, v13, -1, v6
	v_fmac_f32_e32 v16, v17, v12
	s_delay_alu instid0(VALU_DEP_2) | instskip(NEXT) | instid1(VALU_DEP_2)
	v_lshlrev_b64_e32 v[6:7], v13, v[0:1]
	v_fmac_f32_e32 v15, v14, v16
	s_delay_alu instid0(VALU_DEP_2) | instskip(NEXT) | instid1(VALU_DEP_1)
	v_min_u32_e32 v6, 1, v6
	v_dual_sub_nc_u32 v7, 32, v13 :: v_dual_bitop2_b32 v6, v7, v6 bitop3:0x54
	s_delay_alu instid0(VALU_DEP_1) | instskip(NEXT) | instid1(VALU_DEP_1)
	v_cvt_f32_i32_e32 v6, v6
	v_ldexp_f32 v6, v6, v7
	v_div_fmas_f32 v7, v15, v12, v16
	s_delay_alu instid0(VALU_DEP_2) | instskip(NEXT) | instid1(VALU_DEP_2)
	v_add_f32_e32 v6, s2, v6
	v_div_fixup_f32 v7, v7, v11, v10
	s_delay_alu instid0(VALU_DEP_1) | instskip(SKIP_1) | instid1(VALU_DEP_2)
	v_mul_f32_e32 v6, v7, v6
	v_readfirstlane_b32 s3, v7
	v_trunc_f32_e32 v6, v6
	s_mul_f32 s2, s3, s2
	s_delay_alu instid0(VALU_DEP_1) | instskip(NEXT) | instid1(SALU_CYCLE_2)
	v_mul_f32_e64 v7, 0x2f800000, |v6|
	s_trunc_f32 s10, s2
	s_delay_alu instid0(VALU_DEP_1) | instskip(NEXT) | instid1(SALU_CYCLE_2)
	v_floor_f32_e32 v7, v7
	s_and_b32 s2, s10, 0x7fffffff
	s_ashr_i32 s10, s10, 31
	s_mul_f32 s3, s2, 0x2f800000
	s_mov_b32 s11, s10
	v_fma_f32 v10, 0xcf800000, v7, |v6|
	v_ashrrev_i32_e32 v6, 31, v6
	v_cvt_u32_f32_e32 v11, v7
	s_floor_f32 s3, s3
	s_delay_alu instid0(VALU_DEP_3) | instskip(NEXT) | instid1(VALU_DEP_2)
	v_cvt_u32_f32_e32 v10, v10
	v_dual_mov_b32 v7, v6 :: v_dual_bitop2_b32 v11, v11, v6 bitop3:0x14
	s_delay_alu instid0(SALU_CYCLE_1) | instskip(SKIP_1) | instid1(VALU_DEP_2)
	s_fmamk_f32 s2, s3, 0xcf800000, s2
	s_cvt_u32_f32 s3, s3
	v_xor_b32_e32 v10, v10, v6
	s_delay_alu instid0(SALU_CYCLE_1) | instskip(NEXT) | instid1(VALU_DEP_1)
	s_cvt_u32_f32 s2, s2
	v_sub_nc_u64_e32 v[6:7], v[10:11], v[6:7]
	s_delay_alu instid0(SALU_CYCLE_2) | instskip(NEXT) | instid1(SALU_CYCLE_1)
	s_xor_b64 s[2:3], s[2:3], s[10:11]
	s_sub_nc_u64 s[2:3], s[10:11], s[2:3]
	s_delay_alu instid0(VALU_DEP_1) | instid1(SALU_CYCLE_1)
	v_add_nc_u64_e32 v[6:7], s[2:3], v[6:7]
.LBB7_15:
	s_or_b32 exec_lo, exec_lo, s22
	s_clause 0x1
	s_load_b64 s[2:3], s[0:1], 0x20
	s_load_b64 s[10:11], s[0:1], 0x138
	s_add_nc_u64 s[6:7], s[6:7], -1
	s_mov_b32 s24, exec_lo
	s_wait_kmcnt 0x0
	s_sub_nc_u64 s[22:23], s[2:3], s[14:15]
	s_delay_alu instid0(SALU_CYCLE_1)
	v_mov_b64_e32 v[10:11], s[22:23]
	v_cmpx_ne_u64_e64 s[6:7], v[4:5]
	s_cbranch_execz .LBB7_17
; %bb.16:
	s_xor_b32 s25, s22, s23
	s_cls_i32 s26, s23
	s_ashr_i32 s25, s25, 31
	s_add_co_i32 s26, s26, -1
	s_add_co_i32 s25, s25, 32
	s_xor_b32 s27, s6, s7
	s_min_u32 s25, s26, s25
	s_cls_i32 s26, s7
	s_ashr_i32 s27, s27, 31
	s_add_co_i32 s26, s26, -1
	s_add_co_i32 s27, s27, 32
	s_lshl_b64 s[22:23], s[22:23], s25
	s_min_u32 s26, s26, s27
	s_min_u32 s22, s22, 1
	s_lshl_b64 s[6:7], s[6:7], s26
	s_or_b32 s22, s23, s22
	s_min_u32 s6, s6, 1
	s_cvt_f32_i32 s22, s22
	s_or_b32 s6, s7, s6
	s_sub_co_i32 s7, 32, s25
	s_cvt_f32_i32 s6, s6
	s_sub_co_i32 s23, 32, s26
	v_ldexp_f32 v12, s22, s7
	v_cls_i32_e32 v14, v5
	v_ldexp_f32 v13, s6, s23
	s_lshl_b64 s[6:7], s[10:11], 1
	s_delay_alu instid0(SALU_CYCLE_1) | instskip(NEXT) | instid1(VALU_DEP_1)
	s_add_nc_u64 s[6:7], s[4:5], s[6:7]
	v_div_scale_f32 v11, null, v13, v13, v12
	v_div_scale_f32 v18, vcc_lo, v12, v13, v12
	s_load_u16 s6, s[6:7], 0x0
	v_rcp_f32_e32 v15, v11
	v_xor_b32_e32 v16, 0x80000000, v11
	s_delay_alu instid0(TRANS32_DEP_1) | instid1(VALU_DEP_1)
	v_fma_f32 v17, v16, v15, 1.0
	s_delay_alu instid0(VALU_DEP_1) | instskip(NEXT) | instid1(VALU_DEP_1)
	v_dual_fmac_f32 v15, v17, v15 :: v_dual_bitop2_b32 v10, v4, v5 bitop3:0x14
	v_dual_mul_f32 v17, v18, v15 :: v_dual_ashrrev_i32 v10, 31, v10
	s_delay_alu instid0(VALU_DEP_1) | instskip(SKIP_2) | instid1(VALU_DEP_2)
	v_add_nc_u32_e32 v10, 32, v10
	s_wait_kmcnt 0x0
	s_lshl_b32 s6, s6, 16
	v_fma_f32 v19, v16, v17, v18
	s_delay_alu instid0(VALU_DEP_2) | instskip(NEXT) | instid1(VALU_DEP_2)
	v_add_min_u32_e64 v14, v14, -1, v10
	v_fmac_f32_e32 v17, v19, v15
	s_delay_alu instid0(VALU_DEP_2) | instskip(NEXT) | instid1(VALU_DEP_1)
	v_lshlrev_b64_e32 v[10:11], v14, v[4:5]
	v_min_u32_e32 v10, 1, v10
	s_delay_alu instid0(VALU_DEP_1) | instskip(NEXT) | instid1(VALU_DEP_4)
	v_or_b32_e32 v10, v11, v10
	v_dual_fmac_f32 v18, v16, v17 :: v_dual_sub_nc_u32 v11, 32, v14
	s_delay_alu instid0(VALU_DEP_2) | instskip(NEXT) | instid1(VALU_DEP_1)
	v_cvt_f32_i32_e32 v10, v10
	v_ldexp_f32 v10, v10, v11
	s_delay_alu instid0(VALU_DEP_3) | instskip(NEXT) | instid1(VALU_DEP_2)
	v_div_fmas_f32 v11, v18, v15, v17
	v_add_f32_e32 v10, s6, v10
	s_delay_alu instid0(VALU_DEP_2) | instskip(NEXT) | instid1(VALU_DEP_1)
	v_div_fixup_f32 v11, v11, v13, v12
	v_mul_f32_e32 v10, v11, v10
	v_readfirstlane_b32 s7, v11
	s_delay_alu instid0(VALU_DEP_2) | instskip(SKIP_1) | instid1(VALU_DEP_1)
	v_trunc_f32_e32 v10, v10
	s_mul_f32 s6, s7, s6
	v_mul_f32_e64 v11, 0x2f800000, |v10|
	s_delay_alu instid0(SALU_CYCLE_2) | instskip(NEXT) | instid1(VALU_DEP_1)
	s_trunc_f32 s22, s6
	v_floor_f32_e32 v11, v11
	s_delay_alu instid0(SALU_CYCLE_2)
	s_and_b32 s6, s22, 0x7fffffff
	s_ashr_i32 s22, s22, 31
	s_mul_f32 s7, s6, 0x2f800000
	s_mov_b32 s23, s22
	v_fma_f32 v12, 0xcf800000, v11, |v10|
	v_ashrrev_i32_e32 v10, 31, v10
	v_cvt_u32_f32_e32 v13, v11
	s_floor_f32 s7, s7
	s_delay_alu instid0(VALU_DEP_3) | instskip(NEXT) | instid1(VALU_DEP_2)
	v_cvt_u32_f32_e32 v12, v12
	v_dual_mov_b32 v11, v10 :: v_dual_bitop2_b32 v13, v13, v10 bitop3:0x14
	s_delay_alu instid0(SALU_CYCLE_1) | instskip(SKIP_1) | instid1(VALU_DEP_2)
	s_fmamk_f32 s6, s7, 0xcf800000, s6
	s_cvt_u32_f32 s7, s7
	v_xor_b32_e32 v12, v12, v10
	s_delay_alu instid0(SALU_CYCLE_1) | instskip(NEXT) | instid1(VALU_DEP_1)
	s_cvt_u32_f32 s6, s6
	v_sub_nc_u64_e32 v[10:11], v[12:13], v[10:11]
	s_delay_alu instid0(SALU_CYCLE_2) | instskip(NEXT) | instid1(SALU_CYCLE_1)
	s_xor_b64 s[6:7], s[6:7], s[22:23]
	s_sub_nc_u64 s[6:7], s[22:23], s[6:7]
	s_delay_alu instid0(VALU_DEP_1) | instid1(SALU_CYCLE_1)
	v_add_nc_u64_e32 v[10:11], s[6:7], v[10:11]
.LBB7_17:
	s_or_b32 exec_lo, exec_lo, s24
	v_mul_u64_e32 v[8:9], s[8:9], v[8:9]
	s_load_b64 s[22:23], s[0:1], 0x28
	s_add_nc_u64 s[6:7], s[8:9], -1
	s_mov_b32 s24, exec_lo
	s_wait_kmcnt 0x0
	s_sub_nc_u64 s[8:9], s[22:23], s[20:21]
	s_delay_alu instid0(SALU_CYCLE_1) | instskip(NEXT) | instid1(VALU_DEP_2)
	v_mov_b64_e32 v[12:13], s[8:9]
	v_sub_nc_u64_e32 v[2:3], v[2:3], v[8:9]
	s_delay_alu instid0(VALU_DEP_1)
	v_cmpx_ne_u64_e64 s[6:7], v[2:3]
	s_cbranch_execz .LBB7_19
; %bb.18:
	s_xor_b32 s25, s8, s9
	s_xor_b32 s27, s6, s7
	s_cls_i32 s26, s9
	s_ashr_i32 s25, s25, 31
	s_cls_i32 s28, s7
	s_ashr_i32 s27, s27, 31
	s_add_co_i32 s26, s26, -1
	s_add_co_i32 s25, s25, 32
	s_add_co_i32 s28, s28, -1
	s_add_co_i32 s27, s27, 32
	s_min_u32 s25, s26, s25
	s_min_u32 s26, s28, s27
	s_lshl_b64 s[8:9], s[8:9], s25
	s_lshl_b64 s[6:7], s[6:7], s26
	s_min_u32 s8, s8, 1
	s_min_u32 s6, s6, 1
	s_or_b32 s8, s9, s8
	s_or_b32 s6, s7, s6
	s_cvt_f32_i32 s7, s8
	s_cvt_f32_i32 s6, s6
	s_sub_co_i32 s8, 32, s25
	s_sub_co_i32 s9, 32, s26
	v_ldexp_f32 v12, s7, s8
	v_ldexp_f32 v13, s6, s9
	v_clz_i32_u32_e32 v9, v3
	s_lshl_b64 s[6:7], s[10:11], 2
	s_delay_alu instid0(SALU_CYCLE_1) | instskip(NEXT) | instid1(VALU_DEP_2)
	s_add_nc_u64 s[4:5], s[4:5], s[6:7]
	v_div_scale_f32 v8, null, v13, v13, v12
	s_delay_alu instid0(VALU_DEP_2) | instskip(SKIP_2) | instid1(VALU_DEP_3)
	v_min_u32_e32 v16, 32, v9
	s_load_u16 s4, s[4:5], 0x0
	v_div_scale_f32 v18, vcc_lo, v12, v13, v12
	v_rcp_f32_e32 v14, v8
	v_xor_b32_e32 v15, 0x80000000, v8
	v_lshlrev_b64_e32 v[8:9], v16, v[2:3]
	s_delay_alu instid0(TRANS32_DEP_1) | instid1(VALU_DEP_2)
	v_fma_f32 v17, v15, v14, 1.0
	s_delay_alu instid0(VALU_DEP_2) | instskip(NEXT) | instid1(VALU_DEP_2)
	v_min_u32_e32 v8, 1, v8
	v_fmac_f32_e32 v14, v17, v14
	s_delay_alu instid0(VALU_DEP_2) | instskip(SKIP_3) | instid1(VALU_DEP_2)
	v_or_b32_e32 v8, v9, v8
	v_sub_nc_u32_e32 v9, 32, v16
	s_wait_kmcnt 0x0
	s_lshl_b32 s4, s4, 16
	v_cvt_f32_u32_e32 v8, v8
	s_delay_alu instid0(VALU_DEP_1) | instskip(NEXT) | instid1(VALU_DEP_1)
	v_ldexp_f32 v8, v8, v9
	v_dual_mul_f32 v17, v18, v14 :: v_dual_add_f32 v8, s4, v8
	s_delay_alu instid0(VALU_DEP_1) | instskip(NEXT) | instid1(VALU_DEP_1)
	v_fma_f32 v19, v15, v17, v18
	v_fmac_f32_e32 v17, v19, v14
	s_delay_alu instid0(VALU_DEP_1) | instskip(NEXT) | instid1(VALU_DEP_1)
	v_fmac_f32_e32 v18, v15, v17
	v_div_fmas_f32 v9, v18, v14, v17
	s_delay_alu instid0(VALU_DEP_1) | instskip(NEXT) | instid1(VALU_DEP_1)
	v_div_fixup_f32 v9, v9, v13, v12
	v_mul_f32_e32 v8, v9, v8
	v_readfirstlane_b32 s5, v9
	s_delay_alu instid0(VALU_DEP_2) | instskip(SKIP_1) | instid1(VALU_DEP_1)
	v_trunc_f32_e32 v8, v8
	s_mul_f32 s4, s5, s4
	v_mul_f32_e64 v9, 0x2f800000, |v8|
	s_delay_alu instid0(SALU_CYCLE_2) | instskip(NEXT) | instid1(VALU_DEP_1)
	s_trunc_f32 s6, s4
	v_floor_f32_e32 v9, v9
	s_delay_alu instid0(SALU_CYCLE_2)
	s_and_b32 s4, s6, 0x7fffffff
	s_ashr_i32 s6, s6, 31
	s_mul_f32 s5, s4, 0x2f800000
	s_mov_b32 s7, s6
	v_fma_f32 v12, 0xcf800000, v9, |v8|
	v_ashrrev_i32_e32 v8, 31, v8
	v_cvt_u32_f32_e32 v13, v9
	s_floor_f32 s5, s5
	s_delay_alu instid0(VALU_DEP_3) | instskip(NEXT) | instid1(VALU_DEP_2)
	v_cvt_u32_f32_e32 v12, v12
	v_dual_mov_b32 v9, v8 :: v_dual_bitop2_b32 v13, v13, v8 bitop3:0x14
	s_delay_alu instid0(SALU_CYCLE_1) | instskip(SKIP_1) | instid1(VALU_DEP_2)
	s_fmamk_f32 s4, s5, 0xcf800000, s4
	s_cvt_u32_f32 s5, s5
	v_xor_b32_e32 v12, v12, v8
	s_delay_alu instid0(SALU_CYCLE_1) | instskip(NEXT) | instid1(VALU_DEP_1)
	s_cvt_u32_f32 s4, s4
	v_sub_nc_u64_e32 v[8:9], v[12:13], v[8:9]
	s_delay_alu instid0(SALU_CYCLE_2) | instskip(NEXT) | instid1(SALU_CYCLE_1)
	s_xor_b64 s[4:5], s[4:5], s[6:7]
	s_sub_nc_u64 s[4:5], s[6:7], s[4:5]
	s_delay_alu instid0(VALU_DEP_1) | instid1(SALU_CYCLE_1)
	v_add_nc_u64_e32 v[12:13], s[4:5], v[8:9]
.LBB7_19:
	s_or_b32 exec_lo, exec_lo, s24
	v_mad_nc_u64_u32 v[8:9], s2, v6, v[10:11]
	v_cmp_lt_i64_e64 s4, s[12:13], 1
	s_and_b32 vcc_lo, exec_lo, s4
	v_mad_u32 v9, s3, v6, v9
	s_delay_alu instid0(VALU_DEP_1) | instskip(NEXT) | instid1(VALU_DEP_1)
	v_mad_u32 v9, s2, v7, v9
	v_mul_u64_e32 v[14:15], s[22:23], v[8:9]
	s_delay_alu instid0(VALU_DEP_1)
	v_add_nc_u64_e32 v[8:9], v[12:13], v[14:15]
	s_cbranch_vccnz .LBB7_37
; %bb.20:
	s_clause 0x2
	s_load_b256 s[4:11], s[0:1], 0x30
	s_load_b64 s[26:27], s[0:1], 0x50
	s_load_b64 s[24:25], s[0:1], 0x0
	v_add_nc_u64_e32 v[16:17], s[12:13], v[6:7]
	s_add_nc_u64 s[12:13], s[20:21], -8
	v_add_nc_u64_e32 v[18:19], s[14:15], v[10:11]
	v_cmp_gt_i64_e64 s14, s[14:15], 0
	v_cmp_gt_u64_e64 s15, s[12:13], -7
	v_mov_b32_e32 v40, 0xffffff80
	s_wait_kmcnt 0x0
	v_mul_u64_e32 v[20:21], s[10:11], v[10:11]
	v_mul_u64_e32 v[22:23], s[26:27], v[12:13]
	;; [unrolled: 1-line block ×3, first 2 shown]
	s_mul_u64 s[4:5], s[4:5], s[18:19]
	s_mul_u64 s[6:7], s[6:7], s[16:17]
	s_lshl_b64 s[4:5], s[4:5], 1
	s_lshl_b64 s[6:7], s[6:7], 1
	s_add_nc_u64 s[12:13], s[24:25], s[4:5]
	v_cmp_gt_i64_e64 s24, s[20:21], 0
	s_lshl_b64 s[4:5], s[8:9], 1
	s_add_nc_u64 s[8:9], s[12:13], s[6:7]
	s_lshl_b64 s[6:7], s[10:11], 1
	s_mul_u64 s[10:11], s[2:3], s[22:23]
	s_mov_b32 s25, 0
	v_cndmask_b32_e64 v41, 0, 1, s24
	v_lshlrev_b64_e32 v[26:27], 1, v[20:21]
	v_add_nc_u64_e32 v[20:21], s[20:21], v[12:13]
	s_delay_alu instid0(VALU_DEP_2) | instskip(NEXT) | instid1(VALU_DEP_1)
	v_lshl_add_u64 v[22:23], v[22:23], 1, v[26:27]
	v_lshl_add_u64 v[22:23], v[24:25], 1, v[22:23]
	v_mov_b64_e32 v[24:25], v[8:9]
	s_delay_alu instid0(VALU_DEP_2)
	v_add_nc_u64_e32 v[22:23], s[8:9], v[22:23]
	s_lshl_b64 s[8:9], s[26:27], 1
	s_branch .LBB7_23
.LBB7_21:                               ;   in Loop: Header=BB7_23 Depth=1
	s_or_b32 exec_lo, exec_lo, s26
	v_mov_b64_e32 v[24:25], v[34:35]
	v_mov_b32_e32 v40, v42
.LBB7_22:                               ;   in Loop: Header=BB7_23 Depth=1
	v_add_nc_u64_e32 v[6:7], 1, v[6:7]
	v_add_nc_u64_e32 v[8:9], s[10:11], v[8:9]
	;; [unrolled: 1-line block ×4, first 2 shown]
	s_delay_alu instid0(VALU_DEP_4) | instskip(SKIP_1) | instid1(SALU_CYCLE_1)
	v_cmp_ge_i64_e32 vcc_lo, v[6:7], v[16:17]
	s_or_b32 s25, vcc_lo, s25
	s_and_not1_b32 exec_lo, exec_lo, s25
	s_cbranch_execz .LBB7_36
.LBB7_23:                               ; =>This Loop Header: Depth=1
                                        ;     Child Loop BB7_27 Depth 2
                                        ;       Child Loop BB7_29 Depth 3
                                        ;       Child Loop BB7_34 Depth 3
	s_and_not1_b32 vcc_lo, exec_lo, s14
	s_cbranch_vccnz .LBB7_22
; %bb.24:                               ;   in Loop: Header=BB7_23 Depth=1
	s_delay_alu instid0(VALU_DEP_1)
	v_mov_b64_e32 v[26:27], v[22:23]
	v_mov_b64_e32 v[28:29], v[14:15]
	;; [unrolled: 1-line block ×4, first 2 shown]
	s_mov_b32 s26, 0
	s_branch .LBB7_27
.LBB7_25:                               ;   in Loop: Header=BB7_27 Depth=2
	v_mov_b64_e32 v[34:35], v[24:25]
	v_mov_b32_e32 v42, v40
.LBB7_26:                               ;   in Loop: Header=BB7_27 Depth=2
	v_add_nc_u64_e32 v[32:33], 1, v[32:33]
	v_add_nc_u64_e32 v[26:27], s[6:7], v[26:27]
	;; [unrolled: 1-line block ×4, first 2 shown]
	v_mov_b64_e32 v[24:25], v[34:35]
	v_mov_b32_e32 v40, v42
	v_cmp_ge_i64_e32 vcc_lo, v[32:33], v[18:19]
	s_or_b32 s26, vcc_lo, s26
	s_delay_alu instid0(SALU_CYCLE_1)
	s_and_not1_b32 exec_lo, exec_lo, s26
	s_cbranch_execz .LBB7_21
.LBB7_27:                               ;   Parent Loop BB7_23 Depth=1
                                        ; =>  This Loop Header: Depth=2
                                        ;       Child Loop BB7_29 Depth 3
                                        ;       Child Loop BB7_34 Depth 3
	v_cmp_ne_u32_e64 s2, 1, v41
	s_and_not1_b32 vcc_lo, exec_lo, s15
	s_mov_b32 s3, -1
                                        ; implicit-def: $vgpr34_vgpr35
                                        ; implicit-def: $vgpr42
	s_cbranch_vccnz .LBB7_31
; %bb.28:                               ;   in Loop: Header=BB7_27 Depth=2
	v_mov_b64_e32 v[34:35], v[24:25]
	v_mov_b64_e32 v[36:37], v[30:31]
	;; [unrolled: 1-line block ×3, first 2 shown]
	v_mov_b32_e32 v42, v40
	s_and_b32 vcc_lo, exec_lo, s2
	s_mov_b64 s[12:13], s[20:21]
	s_cbranch_vccnz .LBB7_30
.LBB7_29:                               ;   Parent Loop BB7_23 Depth=1
                                        ;     Parent Loop BB7_27 Depth=2
                                        ; =>    This Inner Loop Header: Depth=3
	global_load_u16 v43, v[38:39], off
	v_lshlrev_b32_e32 v44, 16, v42
	s_wait_xcnt 0x0
	v_add_nc_u64_e32 v[38:39], s[8:9], v[38:39]
	s_add_nc_u64 s[12:13], s[12:13], -1
	s_wait_loadcnt 0x0
	v_lshlrev_b32_e32 v45, 16, v43
	s_delay_alu instid0(VALU_DEP_1)
	v_cmp_gt_f32_e32 vcc_lo, v45, v44
	v_cmp_u_f32_e64 s2, v45, v45
	s_or_b32 vcc_lo, vcc_lo, s2
	s_cmp_lg_u64 s[12:13], 0
	v_dual_cndmask_b32 v42, v42, v43 :: v_dual_cndmask_b32 v35, v35, v37
	v_cndmask_b32_e32 v34, v34, v36, vcc_lo
	v_add_nc_u64_e32 v[36:37], 1, v[36:37]
	s_cbranch_scc1 .LBB7_29
.LBB7_30:                               ;   in Loop: Header=BB7_27 Depth=2
	s_mov_b32 s3, 0
.LBB7_31:                               ;   in Loop: Header=BB7_27 Depth=2
	s_delay_alu instid0(SALU_CYCLE_1)
	s_and_not1_b32 vcc_lo, exec_lo, s3
	s_cbranch_vccnz .LBB7_26
; %bb.32:                               ;   in Loop: Header=BB7_27 Depth=2
	s_and_not1_b32 vcc_lo, exec_lo, s24
	s_cbranch_vccnz .LBB7_25
; %bb.33:                               ;   in Loop: Header=BB7_27 Depth=2
	v_mov_b64_e32 v[34:35], v[26:27]
	v_mov_b64_e32 v[36:37], v[12:13]
	s_mov_b32 s12, 0
.LBB7_34:                               ;   Parent Loop BB7_23 Depth=1
                                        ;     Parent Loop BB7_27 Depth=2
                                        ; =>    This Inner Loop Header: Depth=3
	global_load_u16 v42, v[34:35], off
	v_lshlrev_b32_e32 v43, 16, v40
	v_add_nc_u64_e32 v[38:39], v[28:29], v[36:37]
	v_add_nc_u64_e32 v[36:37], 1, v[36:37]
	s_wait_xcnt 0x0
	v_add_nc_u64_e32 v[34:35], s[8:9], v[34:35]
	s_delay_alu instid0(VALU_DEP_2) | instskip(SKIP_2) | instid1(VALU_DEP_1)
	v_cmp_ge_i64_e64 s3, v[36:37], v[20:21]
	s_wait_loadcnt 0x0
	v_lshlrev_b32_e32 v44, 16, v42
	v_cmp_gt_f32_e32 vcc_lo, v44, v43
	v_cmp_u_f32_e64 s2, v44, v44
	s_or_b32 vcc_lo, vcc_lo, s2
	s_or_b32 s12, s3, s12
	v_dual_cndmask_b32 v40, v40, v42 :: v_dual_cndmask_b32 v25, v25, v39
	v_cndmask_b32_e32 v24, v24, v38, vcc_lo
	s_and_not1_b32 exec_lo, exec_lo, s12
	s_cbranch_execnz .LBB7_34
; %bb.35:                               ;   in Loop: Header=BB7_27 Depth=2
	s_or_b32 exec_lo, exec_lo, s12
	s_branch .LBB7_25
.LBB7_36:
	s_or_b32 exec_lo, exec_lo, s25
	v_mov_b64_e32 v[8:9], v[24:25]
	s_branch .LBB7_38
.LBB7_37:
	v_mov_b32_e32 v40, 0xffffff80
.LBB7_38:
	s_clause 0x3
	s_load_b256 s[4:11], s[0:1], 0xe0
	s_load_b256 s[20:27], s[0:1], 0x88
	s_load_b64 s[2:3], s[0:1], 0x100
	s_load_b128 s[12:15], s[0:1], 0xa8
	s_wait_kmcnt 0x0
	v_mul_u64_e32 v[6:7], s[8:9], v[0:1]
	v_mul_u64_e32 v[0:1], s[24:25], v[0:1]
	v_mul_u64_e32 v[10:11], s[10:11], v[4:5]
	v_mul_u64_e32 v[4:5], s[26:27], v[4:5]
	s_load_b64 s[0:1], s[0:1], 0x58
	v_mul_u64_e32 v[12:13], s[2:3], v[2:3]
	v_mul_u64_e32 v[2:3], s[12:13], v[2:3]
	s_mul_u64 s[2:3], s[4:5], s[18:19]
	s_mul_u64 s[4:5], s[6:7], s[16:17]
	;; [unrolled: 1-line block ×3, first 2 shown]
	s_lshl_b64 s[2:3], s[2:3], 3
	s_mul_u64 s[8:9], s[22:23], s[16:17]
	s_lshl_b64 s[6:7], s[6:7], 1
	s_lshl_b64 s[4:5], s[4:5], 3
	s_add_nc_u64 s[2:3], s[14:15], s[2:3]
	s_lshl_b64 s[8:9], s[8:9], 1
	s_add_nc_u64 s[2:3], s[2:3], s[4:5]
	s_wait_kmcnt 0x0
	s_add_nc_u64 s[0:1], s[0:1], s[6:7]
	s_delay_alu instid0(SALU_CYCLE_1) | instskip(SKIP_2) | instid1(VALU_DEP_2)
	s_add_nc_u64 s[0:1], s[0:1], s[8:9]
	v_lshl_add_u64 v[6:7], v[6:7], 3, s[2:3]
	v_lshl_add_u64 v[0:1], v[0:1], 1, s[0:1]
	;; [unrolled: 1-line block ×3, first 2 shown]
	s_delay_alu instid0(VALU_DEP_2) | instskip(NEXT) | instid1(VALU_DEP_2)
	v_lshl_add_u64 v[0:1], v[4:5], 1, v[0:1]
	v_lshl_add_u64 v[4:5], v[12:13], 3, v[6:7]
	s_delay_alu instid0(VALU_DEP_2)
	v_lshl_add_u64 v[0:1], v[2:3], 1, v[0:1]
	global_store_b64 v[4:5], v[8:9], off
	global_store_b16 v[0:1], v40, off
.LBB7_39:
	s_endpgm
	.section	.rodata,"a",@progbits
	.p2align	6, 0x0
	.amdhsa_kernel _ZN2at6native12_GLOBAL__N_131fractional_max_pool3d_out_frameIN3c108BFloat16EEEvN5torch10headeronly6detail27GenericPackedTensorAccessorINS7_14TensorAccessorINS3_8ArrayRefIlEEKT_Lm4ENS6_16DefaultPtrTraitsElEENS_6detail16IndexBoundsCheckILm5ElEESD_Lm5ESE_lEENS8_INS9_ISB_SC_Lm4ESE_lEESI_SC_Lm5ESE_lEENS8_INS9_ISB_lLm4ESE_lEESI_lLm5ESE_lEENS8_INS9_ISB_SD_Lm2ESE_lEENSH_ILm3ElEESD_Lm3ESE_lEElll
		.amdhsa_group_segment_fixed_size 0
		.amdhsa_private_segment_fixed_size 0
		.amdhsa_kernarg_size 600
		.amdhsa_user_sgpr_count 2
		.amdhsa_user_sgpr_dispatch_ptr 0
		.amdhsa_user_sgpr_queue_ptr 0
		.amdhsa_user_sgpr_kernarg_segment_ptr 1
		.amdhsa_user_sgpr_dispatch_id 0
		.amdhsa_user_sgpr_kernarg_preload_length 0
		.amdhsa_user_sgpr_kernarg_preload_offset 0
		.amdhsa_user_sgpr_private_segment_size 0
		.amdhsa_wavefront_size32 1
		.amdhsa_uses_dynamic_stack 0
		.amdhsa_enable_private_segment 0
		.amdhsa_system_sgpr_workgroup_id_x 1
		.amdhsa_system_sgpr_workgroup_id_y 1
		.amdhsa_system_sgpr_workgroup_id_z 1
		.amdhsa_system_sgpr_workgroup_info 0
		.amdhsa_system_vgpr_workitem_id 0
		.amdhsa_next_free_vgpr 46
		.amdhsa_next_free_sgpr 30
		.amdhsa_named_barrier_count 0
		.amdhsa_reserve_vcc 1
		.amdhsa_float_round_mode_32 0
		.amdhsa_float_round_mode_16_64 0
		.amdhsa_float_denorm_mode_32 3
		.amdhsa_float_denorm_mode_16_64 3
		.amdhsa_fp16_overflow 0
		.amdhsa_memory_ordered 1
		.amdhsa_forward_progress 1
		.amdhsa_inst_pref_size 39
		.amdhsa_round_robin_scheduling 0
		.amdhsa_exception_fp_ieee_invalid_op 0
		.amdhsa_exception_fp_denorm_src 0
		.amdhsa_exception_fp_ieee_div_zero 0
		.amdhsa_exception_fp_ieee_overflow 0
		.amdhsa_exception_fp_ieee_underflow 0
		.amdhsa_exception_fp_ieee_inexact 0
		.amdhsa_exception_int_div_zero 0
	.end_amdhsa_kernel
	.section	.text._ZN2at6native12_GLOBAL__N_131fractional_max_pool3d_out_frameIN3c108BFloat16EEEvN5torch10headeronly6detail27GenericPackedTensorAccessorINS7_14TensorAccessorINS3_8ArrayRefIlEEKT_Lm4ENS6_16DefaultPtrTraitsElEENS_6detail16IndexBoundsCheckILm5ElEESD_Lm5ESE_lEENS8_INS9_ISB_SC_Lm4ESE_lEESI_SC_Lm5ESE_lEENS8_INS9_ISB_lLm4ESE_lEESI_lLm5ESE_lEENS8_INS9_ISB_SD_Lm2ESE_lEENSH_ILm3ElEESD_Lm3ESE_lEElll,"axG",@progbits,_ZN2at6native12_GLOBAL__N_131fractional_max_pool3d_out_frameIN3c108BFloat16EEEvN5torch10headeronly6detail27GenericPackedTensorAccessorINS7_14TensorAccessorINS3_8ArrayRefIlEEKT_Lm4ENS6_16DefaultPtrTraitsElEENS_6detail16IndexBoundsCheckILm5ElEESD_Lm5ESE_lEENS8_INS9_ISB_SC_Lm4ESE_lEESI_SC_Lm5ESE_lEENS8_INS9_ISB_lLm4ESE_lEESI_lLm5ESE_lEENS8_INS9_ISB_SD_Lm2ESE_lEENSH_ILm3ElEESD_Lm3ESE_lEElll,comdat
.Lfunc_end7:
	.size	_ZN2at6native12_GLOBAL__N_131fractional_max_pool3d_out_frameIN3c108BFloat16EEEvN5torch10headeronly6detail27GenericPackedTensorAccessorINS7_14TensorAccessorINS3_8ArrayRefIlEEKT_Lm4ENS6_16DefaultPtrTraitsElEENS_6detail16IndexBoundsCheckILm5ElEESD_Lm5ESE_lEENS8_INS9_ISB_SC_Lm4ESE_lEESI_SC_Lm5ESE_lEENS8_INS9_ISB_lLm4ESE_lEESI_lLm5ESE_lEENS8_INS9_ISB_SD_Lm2ESE_lEENSH_ILm3ElEESD_Lm3ESE_lEElll, .Lfunc_end7-_ZN2at6native12_GLOBAL__N_131fractional_max_pool3d_out_frameIN3c108BFloat16EEEvN5torch10headeronly6detail27GenericPackedTensorAccessorINS7_14TensorAccessorINS3_8ArrayRefIlEEKT_Lm4ENS6_16DefaultPtrTraitsElEENS_6detail16IndexBoundsCheckILm5ElEESD_Lm5ESE_lEENS8_INS9_ISB_SC_Lm4ESE_lEESI_SC_Lm5ESE_lEENS8_INS9_ISB_lLm4ESE_lEESI_lLm5ESE_lEENS8_INS9_ISB_SD_Lm2ESE_lEENSH_ILm3ElEESD_Lm3ESE_lEElll
                                        ; -- End function
	.set _ZN2at6native12_GLOBAL__N_131fractional_max_pool3d_out_frameIN3c108BFloat16EEEvN5torch10headeronly6detail27GenericPackedTensorAccessorINS7_14TensorAccessorINS3_8ArrayRefIlEEKT_Lm4ENS6_16DefaultPtrTraitsElEENS_6detail16IndexBoundsCheckILm5ElEESD_Lm5ESE_lEENS8_INS9_ISB_SC_Lm4ESE_lEESI_SC_Lm5ESE_lEENS8_INS9_ISB_lLm4ESE_lEESI_lLm5ESE_lEENS8_INS9_ISB_SD_Lm2ESE_lEENSH_ILm3ElEESD_Lm3ESE_lEElll.num_vgpr, 46
	.set _ZN2at6native12_GLOBAL__N_131fractional_max_pool3d_out_frameIN3c108BFloat16EEEvN5torch10headeronly6detail27GenericPackedTensorAccessorINS7_14TensorAccessorINS3_8ArrayRefIlEEKT_Lm4ENS6_16DefaultPtrTraitsElEENS_6detail16IndexBoundsCheckILm5ElEESD_Lm5ESE_lEENS8_INS9_ISB_SC_Lm4ESE_lEESI_SC_Lm5ESE_lEENS8_INS9_ISB_lLm4ESE_lEESI_lLm5ESE_lEENS8_INS9_ISB_SD_Lm2ESE_lEENSH_ILm3ElEESD_Lm3ESE_lEElll.num_agpr, 0
	.set _ZN2at6native12_GLOBAL__N_131fractional_max_pool3d_out_frameIN3c108BFloat16EEEvN5torch10headeronly6detail27GenericPackedTensorAccessorINS7_14TensorAccessorINS3_8ArrayRefIlEEKT_Lm4ENS6_16DefaultPtrTraitsElEENS_6detail16IndexBoundsCheckILm5ElEESD_Lm5ESE_lEENS8_INS9_ISB_SC_Lm4ESE_lEESI_SC_Lm5ESE_lEENS8_INS9_ISB_lLm4ESE_lEESI_lLm5ESE_lEENS8_INS9_ISB_SD_Lm2ESE_lEENSH_ILm3ElEESD_Lm3ESE_lEElll.numbered_sgpr, 30
	.set _ZN2at6native12_GLOBAL__N_131fractional_max_pool3d_out_frameIN3c108BFloat16EEEvN5torch10headeronly6detail27GenericPackedTensorAccessorINS7_14TensorAccessorINS3_8ArrayRefIlEEKT_Lm4ENS6_16DefaultPtrTraitsElEENS_6detail16IndexBoundsCheckILm5ElEESD_Lm5ESE_lEENS8_INS9_ISB_SC_Lm4ESE_lEESI_SC_Lm5ESE_lEENS8_INS9_ISB_lLm4ESE_lEESI_lLm5ESE_lEENS8_INS9_ISB_SD_Lm2ESE_lEENSH_ILm3ElEESD_Lm3ESE_lEElll.num_named_barrier, 0
	.set _ZN2at6native12_GLOBAL__N_131fractional_max_pool3d_out_frameIN3c108BFloat16EEEvN5torch10headeronly6detail27GenericPackedTensorAccessorINS7_14TensorAccessorINS3_8ArrayRefIlEEKT_Lm4ENS6_16DefaultPtrTraitsElEENS_6detail16IndexBoundsCheckILm5ElEESD_Lm5ESE_lEENS8_INS9_ISB_SC_Lm4ESE_lEESI_SC_Lm5ESE_lEENS8_INS9_ISB_lLm4ESE_lEESI_lLm5ESE_lEENS8_INS9_ISB_SD_Lm2ESE_lEENSH_ILm3ElEESD_Lm3ESE_lEElll.private_seg_size, 0
	.set _ZN2at6native12_GLOBAL__N_131fractional_max_pool3d_out_frameIN3c108BFloat16EEEvN5torch10headeronly6detail27GenericPackedTensorAccessorINS7_14TensorAccessorINS3_8ArrayRefIlEEKT_Lm4ENS6_16DefaultPtrTraitsElEENS_6detail16IndexBoundsCheckILm5ElEESD_Lm5ESE_lEENS8_INS9_ISB_SC_Lm4ESE_lEESI_SC_Lm5ESE_lEENS8_INS9_ISB_lLm4ESE_lEESI_lLm5ESE_lEENS8_INS9_ISB_SD_Lm2ESE_lEENSH_ILm3ElEESD_Lm3ESE_lEElll.uses_vcc, 1
	.set _ZN2at6native12_GLOBAL__N_131fractional_max_pool3d_out_frameIN3c108BFloat16EEEvN5torch10headeronly6detail27GenericPackedTensorAccessorINS7_14TensorAccessorINS3_8ArrayRefIlEEKT_Lm4ENS6_16DefaultPtrTraitsElEENS_6detail16IndexBoundsCheckILm5ElEESD_Lm5ESE_lEENS8_INS9_ISB_SC_Lm4ESE_lEESI_SC_Lm5ESE_lEENS8_INS9_ISB_lLm4ESE_lEESI_lLm5ESE_lEENS8_INS9_ISB_SD_Lm2ESE_lEENSH_ILm3ElEESD_Lm3ESE_lEElll.uses_flat_scratch, 0
	.set _ZN2at6native12_GLOBAL__N_131fractional_max_pool3d_out_frameIN3c108BFloat16EEEvN5torch10headeronly6detail27GenericPackedTensorAccessorINS7_14TensorAccessorINS3_8ArrayRefIlEEKT_Lm4ENS6_16DefaultPtrTraitsElEENS_6detail16IndexBoundsCheckILm5ElEESD_Lm5ESE_lEENS8_INS9_ISB_SC_Lm4ESE_lEESI_SC_Lm5ESE_lEENS8_INS9_ISB_lLm4ESE_lEESI_lLm5ESE_lEENS8_INS9_ISB_SD_Lm2ESE_lEENSH_ILm3ElEESD_Lm3ESE_lEElll.has_dyn_sized_stack, 0
	.set _ZN2at6native12_GLOBAL__N_131fractional_max_pool3d_out_frameIN3c108BFloat16EEEvN5torch10headeronly6detail27GenericPackedTensorAccessorINS7_14TensorAccessorINS3_8ArrayRefIlEEKT_Lm4ENS6_16DefaultPtrTraitsElEENS_6detail16IndexBoundsCheckILm5ElEESD_Lm5ESE_lEENS8_INS9_ISB_SC_Lm4ESE_lEESI_SC_Lm5ESE_lEENS8_INS9_ISB_lLm4ESE_lEESI_lLm5ESE_lEENS8_INS9_ISB_SD_Lm2ESE_lEENSH_ILm3ElEESD_Lm3ESE_lEElll.has_recursion, 0
	.set _ZN2at6native12_GLOBAL__N_131fractional_max_pool3d_out_frameIN3c108BFloat16EEEvN5torch10headeronly6detail27GenericPackedTensorAccessorINS7_14TensorAccessorINS3_8ArrayRefIlEEKT_Lm4ENS6_16DefaultPtrTraitsElEENS_6detail16IndexBoundsCheckILm5ElEESD_Lm5ESE_lEENS8_INS9_ISB_SC_Lm4ESE_lEESI_SC_Lm5ESE_lEENS8_INS9_ISB_lLm4ESE_lEESI_lLm5ESE_lEENS8_INS9_ISB_SD_Lm2ESE_lEENSH_ILm3ElEESD_Lm3ESE_lEElll.has_indirect_call, 0
	.section	.AMDGPU.csdata,"",@progbits
; Kernel info:
; codeLenInByte = 4984
; TotalNumSgprs: 32
; NumVgprs: 46
; ScratchSize: 0
; MemoryBound: 0
; FloatMode: 240
; IeeeMode: 1
; LDSByteSize: 0 bytes/workgroup (compile time only)
; SGPRBlocks: 0
; VGPRBlocks: 2
; NumSGPRsForWavesPerEU: 32
; NumVGPRsForWavesPerEU: 46
; NamedBarCnt: 0
; Occupancy: 16
; WaveLimiterHint : 1
; COMPUTE_PGM_RSRC2:SCRATCH_EN: 0
; COMPUTE_PGM_RSRC2:USER_SGPR: 2
; COMPUTE_PGM_RSRC2:TRAP_HANDLER: 0
; COMPUTE_PGM_RSRC2:TGID_X_EN: 1
; COMPUTE_PGM_RSRC2:TGID_Y_EN: 1
; COMPUTE_PGM_RSRC2:TGID_Z_EN: 1
; COMPUTE_PGM_RSRC2:TIDIG_COMP_CNT: 0
	.section	.AMDGPU.gpr_maximums,"",@progbits
	.set amdgpu.max_num_vgpr, 0
	.set amdgpu.max_num_agpr, 0
	.set amdgpu.max_num_sgpr, 0
	.section	.AMDGPU.csdata,"",@progbits
	.type	__hip_cuid_fe5c4ad8d0a2f071,@object ; @__hip_cuid_fe5c4ad8d0a2f071
	.section	.bss,"aw",@nobits
	.globl	__hip_cuid_fe5c4ad8d0a2f071
__hip_cuid_fe5c4ad8d0a2f071:
	.byte	0                               ; 0x0
	.size	__hip_cuid_fe5c4ad8d0a2f071, 1

	.ident	"AMD clang version 22.0.0git (https://github.com/RadeonOpenCompute/llvm-project roc-7.2.4 26084 f58b06dce1f9c15707c5f808fd002e18c2accf7e)"
	.section	".note.GNU-stack","",@progbits
	.addrsig
	.addrsig_sym __hip_cuid_fe5c4ad8d0a2f071
	.amdgpu_metadata
---
amdhsa.kernels:
  - .args:
      - .offset:         0
        .size:           88
        .value_kind:     by_value
      - .offset:         88
        .size:           88
        .value_kind:     by_value
      - .offset:         176
        .size:           88
        .value_kind:     by_value
      - .offset:         264
        .size:           4
        .value_kind:     hidden_block_count_x
      - .offset:         268
        .size:           4
        .value_kind:     hidden_block_count_y
      - .offset:         272
        .size:           4
        .value_kind:     hidden_block_count_z
      - .offset:         276
        .size:           2
        .value_kind:     hidden_group_size_x
      - .offset:         278
        .size:           2
        .value_kind:     hidden_group_size_y
      - .offset:         280
        .size:           2
        .value_kind:     hidden_group_size_z
      - .offset:         282
        .size:           2
        .value_kind:     hidden_remainder_x
      - .offset:         284
        .size:           2
        .value_kind:     hidden_remainder_y
      - .offset:         286
        .size:           2
        .value_kind:     hidden_remainder_z
      - .offset:         304
        .size:           8
        .value_kind:     hidden_global_offset_x
      - .offset:         312
        .size:           8
        .value_kind:     hidden_global_offset_y
      - .offset:         320
        .size:           8
        .value_kind:     hidden_global_offset_z
      - .offset:         328
        .size:           2
        .value_kind:     hidden_grid_dims
    .group_segment_fixed_size: 0
    .kernarg_segment_align: 8
    .kernarg_segment_size: 520
    .language:       OpenCL C
    .language_version:
      - 2
      - 0
    .max_flat_workgroup_size: 1024
    .name:           _ZN2at6native12_GLOBAL__N_140fractional_max_pool3d_backward_out_frameIdEEvN5torch10headeronly6detail27GenericPackedTensorAccessorINS5_14TensorAccessorIN3c108ArrayRefIlEET_Lm4ENS4_16DefaultPtrTraitsElEENS_6detail16IndexBoundsCheckILm5ElEESB_Lm5ESC_lEENS6_INS7_ISA_KSB_Lm4ESC_lEESG_SI_Lm5ESC_lEENS6_INS7_ISA_KlLm4ESC_lEESG_SL_Lm5ESC_lEE
    .private_segment_fixed_size: 0
    .sgpr_count:     32
    .sgpr_spill_count: 0
    .symbol:         _ZN2at6native12_GLOBAL__N_140fractional_max_pool3d_backward_out_frameIdEEvN5torch10headeronly6detail27GenericPackedTensorAccessorINS5_14TensorAccessorIN3c108ArrayRefIlEET_Lm4ENS4_16DefaultPtrTraitsElEENS_6detail16IndexBoundsCheckILm5ElEESB_Lm5ESC_lEENS6_INS7_ISA_KSB_Lm4ESC_lEESG_SI_Lm5ESC_lEENS6_INS7_ISA_KlLm4ESC_lEESG_SL_Lm5ESC_lEE.kd
    .uniform_work_group_size: 1
    .uses_dynamic_stack: false
    .vgpr_count:     28
    .vgpr_spill_count: 0
    .wavefront_size: 32
  - .args:
      - .offset:         0
        .size:           88
        .value_kind:     by_value
      - .offset:         88
        .size:           88
        .value_kind:     by_value
      - .offset:         176
        .size:           88
        .value_kind:     by_value
      - .offset:         264
        .size:           4
        .value_kind:     hidden_block_count_x
      - .offset:         268
        .size:           4
        .value_kind:     hidden_block_count_y
      - .offset:         272
        .size:           4
        .value_kind:     hidden_block_count_z
      - .offset:         276
        .size:           2
        .value_kind:     hidden_group_size_x
      - .offset:         278
        .size:           2
        .value_kind:     hidden_group_size_y
      - .offset:         280
        .size:           2
        .value_kind:     hidden_group_size_z
      - .offset:         282
        .size:           2
        .value_kind:     hidden_remainder_x
      - .offset:         284
        .size:           2
        .value_kind:     hidden_remainder_y
      - .offset:         286
        .size:           2
        .value_kind:     hidden_remainder_z
      - .offset:         304
        .size:           8
        .value_kind:     hidden_global_offset_x
      - .offset:         312
        .size:           8
        .value_kind:     hidden_global_offset_y
      - .offset:         320
        .size:           8
        .value_kind:     hidden_global_offset_z
      - .offset:         328
        .size:           2
        .value_kind:     hidden_grid_dims
    .group_segment_fixed_size: 0
    .kernarg_segment_align: 8
    .kernarg_segment_size: 520
    .language:       OpenCL C
    .language_version:
      - 2
      - 0
    .max_flat_workgroup_size: 1024
    .name:           _ZN2at6native12_GLOBAL__N_140fractional_max_pool3d_backward_out_frameIfEEvN5torch10headeronly6detail27GenericPackedTensorAccessorINS5_14TensorAccessorIN3c108ArrayRefIlEET_Lm4ENS4_16DefaultPtrTraitsElEENS_6detail16IndexBoundsCheckILm5ElEESB_Lm5ESC_lEENS6_INS7_ISA_KSB_Lm4ESC_lEESG_SI_Lm5ESC_lEENS6_INS7_ISA_KlLm4ESC_lEESG_SL_Lm5ESC_lEE
    .private_segment_fixed_size: 0
    .sgpr_count:     32
    .sgpr_spill_count: 0
    .symbol:         _ZN2at6native12_GLOBAL__N_140fractional_max_pool3d_backward_out_frameIfEEvN5torch10headeronly6detail27GenericPackedTensorAccessorINS5_14TensorAccessorIN3c108ArrayRefIlEET_Lm4ENS4_16DefaultPtrTraitsElEENS_6detail16IndexBoundsCheckILm5ElEESB_Lm5ESC_lEENS6_INS7_ISA_KSB_Lm4ESC_lEESG_SI_Lm5ESC_lEENS6_INS7_ISA_KlLm4ESC_lEESG_SL_Lm5ESC_lEE.kd
    .uniform_work_group_size: 1
    .uses_dynamic_stack: false
    .vgpr_count:     28
    .vgpr_spill_count: 0
    .wavefront_size: 32
  - .args:
      - .offset:         0
        .size:           88
        .value_kind:     by_value
      - .offset:         88
        .size:           88
        .value_kind:     by_value
      - .offset:         176
        .size:           88
        .value_kind:     by_value
      - .offset:         264
        .size:           4
        .value_kind:     hidden_block_count_x
      - .offset:         268
        .size:           4
        .value_kind:     hidden_block_count_y
      - .offset:         272
        .size:           4
        .value_kind:     hidden_block_count_z
      - .offset:         276
        .size:           2
        .value_kind:     hidden_group_size_x
      - .offset:         278
        .size:           2
        .value_kind:     hidden_group_size_y
      - .offset:         280
        .size:           2
        .value_kind:     hidden_group_size_z
      - .offset:         282
        .size:           2
        .value_kind:     hidden_remainder_x
      - .offset:         284
        .size:           2
        .value_kind:     hidden_remainder_y
      - .offset:         286
        .size:           2
        .value_kind:     hidden_remainder_z
      - .offset:         304
        .size:           8
        .value_kind:     hidden_global_offset_x
      - .offset:         312
        .size:           8
        .value_kind:     hidden_global_offset_y
      - .offset:         320
        .size:           8
        .value_kind:     hidden_global_offset_z
      - .offset:         328
        .size:           2
        .value_kind:     hidden_grid_dims
    .group_segment_fixed_size: 0
    .kernarg_segment_align: 8
    .kernarg_segment_size: 520
    .language:       OpenCL C
    .language_version:
      - 2
      - 0
    .max_flat_workgroup_size: 1024
    .name:           _ZN2at6native12_GLOBAL__N_140fractional_max_pool3d_backward_out_frameIN3c104HalfEEEvN5torch10headeronly6detail27GenericPackedTensorAccessorINS7_14TensorAccessorINS3_8ArrayRefIlEET_Lm4ENS6_16DefaultPtrTraitsElEENS_6detail16IndexBoundsCheckILm5ElEESC_Lm5ESD_lEENS8_INS9_ISB_KSC_Lm4ESD_lEESH_SJ_Lm5ESD_lEENS8_INS9_ISB_KlLm4ESD_lEESH_SM_Lm5ESD_lEE
    .private_segment_fixed_size: 0
    .sgpr_count:     34
    .sgpr_spill_count: 0
    .symbol:         _ZN2at6native12_GLOBAL__N_140fractional_max_pool3d_backward_out_frameIN3c104HalfEEEvN5torch10headeronly6detail27GenericPackedTensorAccessorINS7_14TensorAccessorINS3_8ArrayRefIlEET_Lm4ENS6_16DefaultPtrTraitsElEENS_6detail16IndexBoundsCheckILm5ElEESC_Lm5ESD_lEENS8_INS9_ISB_KSC_Lm4ESD_lEESH_SJ_Lm5ESD_lEENS8_INS9_ISB_KlLm4ESD_lEESH_SM_Lm5ESD_lEE.kd
    .uniform_work_group_size: 1
    .uses_dynamic_stack: false
    .vgpr_count:     28
    .vgpr_spill_count: 0
    .wavefront_size: 32
  - .args:
      - .offset:         0
        .size:           88
        .value_kind:     by_value
      - .offset:         88
        .size:           88
        .value_kind:     by_value
      - .offset:         176
        .size:           88
        .value_kind:     by_value
      - .offset:         264
        .size:           4
        .value_kind:     hidden_block_count_x
      - .offset:         268
        .size:           4
        .value_kind:     hidden_block_count_y
      - .offset:         272
        .size:           4
        .value_kind:     hidden_block_count_z
      - .offset:         276
        .size:           2
        .value_kind:     hidden_group_size_x
      - .offset:         278
        .size:           2
        .value_kind:     hidden_group_size_y
      - .offset:         280
        .size:           2
        .value_kind:     hidden_group_size_z
      - .offset:         282
        .size:           2
        .value_kind:     hidden_remainder_x
      - .offset:         284
        .size:           2
        .value_kind:     hidden_remainder_y
      - .offset:         286
        .size:           2
        .value_kind:     hidden_remainder_z
      - .offset:         304
        .size:           8
        .value_kind:     hidden_global_offset_x
      - .offset:         312
        .size:           8
        .value_kind:     hidden_global_offset_y
      - .offset:         320
        .size:           8
        .value_kind:     hidden_global_offset_z
      - .offset:         328
        .size:           2
        .value_kind:     hidden_grid_dims
    .group_segment_fixed_size: 0
    .kernarg_segment_align: 8
    .kernarg_segment_size: 520
    .language:       OpenCL C
    .language_version:
      - 2
      - 0
    .max_flat_workgroup_size: 1024
    .name:           _ZN2at6native12_GLOBAL__N_140fractional_max_pool3d_backward_out_frameIN3c108BFloat16EEEvN5torch10headeronly6detail27GenericPackedTensorAccessorINS7_14TensorAccessorINS3_8ArrayRefIlEET_Lm4ENS6_16DefaultPtrTraitsElEENS_6detail16IndexBoundsCheckILm5ElEESC_Lm5ESD_lEENS8_INS9_ISB_KSC_Lm4ESD_lEESH_SJ_Lm5ESD_lEENS8_INS9_ISB_KlLm4ESD_lEESH_SM_Lm5ESD_lEE
    .private_segment_fixed_size: 0
    .sgpr_count:     34
    .sgpr_spill_count: 0
    .symbol:         _ZN2at6native12_GLOBAL__N_140fractional_max_pool3d_backward_out_frameIN3c108BFloat16EEEvN5torch10headeronly6detail27GenericPackedTensorAccessorINS7_14TensorAccessorINS3_8ArrayRefIlEET_Lm4ENS6_16DefaultPtrTraitsElEENS_6detail16IndexBoundsCheckILm5ElEESC_Lm5ESD_lEENS8_INS9_ISB_KSC_Lm4ESD_lEESH_SJ_Lm5ESD_lEENS8_INS9_ISB_KlLm4ESD_lEESH_SM_Lm5ESD_lEE.kd
    .uniform_work_group_size: 1
    .uses_dynamic_stack: false
    .vgpr_count:     28
    .vgpr_spill_count: 0
    .wavefront_size: 32
  - .args:
      - .offset:         0
        .size:           88
        .value_kind:     by_value
      - .offset:         88
        .size:           88
        .value_kind:     by_value
      - .offset:         176
        .size:           88
        .value_kind:     by_value
      - .offset:         264
        .size:           56
        .value_kind:     by_value
      - .offset:         320
        .size:           8
        .value_kind:     by_value
      - .offset:         328
        .size:           8
        .value_kind:     by_value
      - .offset:         336
        .size:           8
        .value_kind:     by_value
      - .offset:         344
        .size:           4
        .value_kind:     hidden_block_count_x
      - .offset:         348
        .size:           4
        .value_kind:     hidden_block_count_y
      - .offset:         352
        .size:           4
        .value_kind:     hidden_block_count_z
      - .offset:         356
        .size:           2
        .value_kind:     hidden_group_size_x
      - .offset:         358
        .size:           2
        .value_kind:     hidden_group_size_y
      - .offset:         360
        .size:           2
        .value_kind:     hidden_group_size_z
      - .offset:         362
        .size:           2
        .value_kind:     hidden_remainder_x
      - .offset:         364
        .size:           2
        .value_kind:     hidden_remainder_y
      - .offset:         366
        .size:           2
        .value_kind:     hidden_remainder_z
      - .offset:         384
        .size:           8
        .value_kind:     hidden_global_offset_x
      - .offset:         392
        .size:           8
        .value_kind:     hidden_global_offset_y
      - .offset:         400
        .size:           8
        .value_kind:     hidden_global_offset_z
      - .offset:         408
        .size:           2
        .value_kind:     hidden_grid_dims
    .group_segment_fixed_size: 0
    .kernarg_segment_align: 8
    .kernarg_segment_size: 600
    .language:       OpenCL C
    .language_version:
      - 2
      - 0
    .max_flat_workgroup_size: 1024
    .name:           _ZN2at6native12_GLOBAL__N_131fractional_max_pool3d_out_frameIdEEvN5torch10headeronly6detail27GenericPackedTensorAccessorINS5_14TensorAccessorIN3c108ArrayRefIlEEKT_Lm4ENS4_16DefaultPtrTraitsElEENS_6detail16IndexBoundsCheckILm5ElEESC_Lm5ESD_lEENS6_INS7_ISA_SB_Lm4ESD_lEESH_SB_Lm5ESD_lEENS6_INS7_ISA_lLm4ESD_lEESH_lLm5ESD_lEENS6_INS7_ISA_SC_Lm2ESD_lEENSG_ILm3ElEESC_Lm3ESD_lEElll
    .private_segment_fixed_size: 0
    .sgpr_count:     32
    .sgpr_spill_count: 0
    .symbol:         _ZN2at6native12_GLOBAL__N_131fractional_max_pool3d_out_frameIdEEvN5torch10headeronly6detail27GenericPackedTensorAccessorINS5_14TensorAccessorIN3c108ArrayRefIlEEKT_Lm4ENS4_16DefaultPtrTraitsElEENS_6detail16IndexBoundsCheckILm5ElEESC_Lm5ESD_lEENS6_INS7_ISA_SB_Lm4ESD_lEESH_SB_Lm5ESD_lEENS6_INS7_ISA_lLm4ESD_lEESH_lLm5ESD_lEENS6_INS7_ISA_SC_Lm2ESD_lEENSG_ILm3ElEESC_Lm3ESD_lEElll.kd
    .uniform_work_group_size: 1
    .uses_dynamic_stack: false
    .vgpr_count:     48
    .vgpr_spill_count: 0
    .wavefront_size: 32
  - .args:
      - .offset:         0
        .size:           88
        .value_kind:     by_value
      - .offset:         88
        .size:           88
        .value_kind:     by_value
      - .offset:         176
        .size:           88
        .value_kind:     by_value
      - .offset:         264
        .size:           56
        .value_kind:     by_value
      - .offset:         320
        .size:           8
        .value_kind:     by_value
      - .offset:         328
        .size:           8
        .value_kind:     by_value
      - .offset:         336
        .size:           8
        .value_kind:     by_value
      - .offset:         344
        .size:           4
        .value_kind:     hidden_block_count_x
      - .offset:         348
        .size:           4
        .value_kind:     hidden_block_count_y
      - .offset:         352
        .size:           4
        .value_kind:     hidden_block_count_z
      - .offset:         356
        .size:           2
        .value_kind:     hidden_group_size_x
      - .offset:         358
        .size:           2
        .value_kind:     hidden_group_size_y
      - .offset:         360
        .size:           2
        .value_kind:     hidden_group_size_z
      - .offset:         362
        .size:           2
        .value_kind:     hidden_remainder_x
      - .offset:         364
        .size:           2
        .value_kind:     hidden_remainder_y
      - .offset:         366
        .size:           2
        .value_kind:     hidden_remainder_z
      - .offset:         384
        .size:           8
        .value_kind:     hidden_global_offset_x
      - .offset:         392
        .size:           8
        .value_kind:     hidden_global_offset_y
      - .offset:         400
        .size:           8
        .value_kind:     hidden_global_offset_z
      - .offset:         408
        .size:           2
        .value_kind:     hidden_grid_dims
    .group_segment_fixed_size: 0
    .kernarg_segment_align: 8
    .kernarg_segment_size: 600
    .language:       OpenCL C
    .language_version:
      - 2
      - 0
    .max_flat_workgroup_size: 1024
    .name:           _ZN2at6native12_GLOBAL__N_131fractional_max_pool3d_out_frameIfEEvN5torch10headeronly6detail27GenericPackedTensorAccessorINS5_14TensorAccessorIN3c108ArrayRefIlEEKT_Lm4ENS4_16DefaultPtrTraitsElEENS_6detail16IndexBoundsCheckILm5ElEESC_Lm5ESD_lEENS6_INS7_ISA_SB_Lm4ESD_lEESH_SB_Lm5ESD_lEENS6_INS7_ISA_lLm4ESD_lEESH_lLm5ESD_lEENS6_INS7_ISA_SC_Lm2ESD_lEENSG_ILm3ElEESC_Lm3ESD_lEElll
    .private_segment_fixed_size: 0
    .sgpr_count:     32
    .sgpr_spill_count: 0
    .symbol:         _ZN2at6native12_GLOBAL__N_131fractional_max_pool3d_out_frameIfEEvN5torch10headeronly6detail27GenericPackedTensorAccessorINS5_14TensorAccessorIN3c108ArrayRefIlEEKT_Lm4ENS4_16DefaultPtrTraitsElEENS_6detail16IndexBoundsCheckILm5ElEESC_Lm5ESD_lEENS6_INS7_ISA_SB_Lm4ESD_lEESH_SB_Lm5ESD_lEENS6_INS7_ISA_lLm4ESD_lEESH_lLm5ESD_lEENS6_INS7_ISA_SC_Lm2ESD_lEENSG_ILm3ElEESC_Lm3ESD_lEElll.kd
    .uniform_work_group_size: 1
    .uses_dynamic_stack: false
    .vgpr_count:     44
    .vgpr_spill_count: 0
    .wavefront_size: 32
  - .args:
      - .offset:         0
        .size:           88
        .value_kind:     by_value
      - .offset:         88
        .size:           88
        .value_kind:     by_value
      - .offset:         176
        .size:           88
        .value_kind:     by_value
      - .offset:         264
        .size:           56
        .value_kind:     by_value
      - .offset:         320
        .size:           8
        .value_kind:     by_value
      - .offset:         328
        .size:           8
        .value_kind:     by_value
      - .offset:         336
        .size:           8
        .value_kind:     by_value
      - .offset:         344
        .size:           4
        .value_kind:     hidden_block_count_x
      - .offset:         348
        .size:           4
        .value_kind:     hidden_block_count_y
      - .offset:         352
        .size:           4
        .value_kind:     hidden_block_count_z
      - .offset:         356
        .size:           2
        .value_kind:     hidden_group_size_x
      - .offset:         358
        .size:           2
        .value_kind:     hidden_group_size_y
      - .offset:         360
        .size:           2
        .value_kind:     hidden_group_size_z
      - .offset:         362
        .size:           2
        .value_kind:     hidden_remainder_x
      - .offset:         364
        .size:           2
        .value_kind:     hidden_remainder_y
      - .offset:         366
        .size:           2
        .value_kind:     hidden_remainder_z
      - .offset:         384
        .size:           8
        .value_kind:     hidden_global_offset_x
      - .offset:         392
        .size:           8
        .value_kind:     hidden_global_offset_y
      - .offset:         400
        .size:           8
        .value_kind:     hidden_global_offset_z
      - .offset:         408
        .size:           2
        .value_kind:     hidden_grid_dims
    .group_segment_fixed_size: 0
    .kernarg_segment_align: 8
    .kernarg_segment_size: 600
    .language:       OpenCL C
    .language_version:
      - 2
      - 0
    .max_flat_workgroup_size: 1024
    .name:           _ZN2at6native12_GLOBAL__N_131fractional_max_pool3d_out_frameIN3c104HalfEEEvN5torch10headeronly6detail27GenericPackedTensorAccessorINS7_14TensorAccessorINS3_8ArrayRefIlEEKT_Lm4ENS6_16DefaultPtrTraitsElEENS_6detail16IndexBoundsCheckILm5ElEESD_Lm5ESE_lEENS8_INS9_ISB_SC_Lm4ESE_lEESI_SC_Lm5ESE_lEENS8_INS9_ISB_lLm4ESE_lEESI_lLm5ESE_lEENS8_INS9_ISB_SD_Lm2ESE_lEENSH_ILm3ElEESD_Lm3ESE_lEElll
    .private_segment_fixed_size: 0
    .sgpr_count:     32
    .sgpr_spill_count: 0
    .symbol:         _ZN2at6native12_GLOBAL__N_131fractional_max_pool3d_out_frameIN3c104HalfEEEvN5torch10headeronly6detail27GenericPackedTensorAccessorINS7_14TensorAccessorINS3_8ArrayRefIlEEKT_Lm4ENS6_16DefaultPtrTraitsElEENS_6detail16IndexBoundsCheckILm5ElEESD_Lm5ESE_lEENS8_INS9_ISB_SC_Lm4ESE_lEESI_SC_Lm5ESE_lEENS8_INS9_ISB_lLm4ESE_lEESI_lLm5ESE_lEENS8_INS9_ISB_SD_Lm2ESE_lEENSH_ILm3ElEESD_Lm3ESE_lEElll.kd
    .uniform_work_group_size: 1
    .uses_dynamic_stack: false
    .vgpr_count:     44
    .vgpr_spill_count: 0
    .wavefront_size: 32
  - .args:
      - .offset:         0
        .size:           88
        .value_kind:     by_value
      - .offset:         88
        .size:           88
        .value_kind:     by_value
      - .offset:         176
        .size:           88
        .value_kind:     by_value
      - .offset:         264
        .size:           56
        .value_kind:     by_value
      - .offset:         320
        .size:           8
        .value_kind:     by_value
      - .offset:         328
        .size:           8
        .value_kind:     by_value
      - .offset:         336
        .size:           8
        .value_kind:     by_value
      - .offset:         344
        .size:           4
        .value_kind:     hidden_block_count_x
      - .offset:         348
        .size:           4
        .value_kind:     hidden_block_count_y
      - .offset:         352
        .size:           4
        .value_kind:     hidden_block_count_z
      - .offset:         356
        .size:           2
        .value_kind:     hidden_group_size_x
      - .offset:         358
        .size:           2
        .value_kind:     hidden_group_size_y
      - .offset:         360
        .size:           2
        .value_kind:     hidden_group_size_z
      - .offset:         362
        .size:           2
        .value_kind:     hidden_remainder_x
      - .offset:         364
        .size:           2
        .value_kind:     hidden_remainder_y
      - .offset:         366
        .size:           2
        .value_kind:     hidden_remainder_z
      - .offset:         384
        .size:           8
        .value_kind:     hidden_global_offset_x
      - .offset:         392
        .size:           8
        .value_kind:     hidden_global_offset_y
      - .offset:         400
        .size:           8
        .value_kind:     hidden_global_offset_z
      - .offset:         408
        .size:           2
        .value_kind:     hidden_grid_dims
    .group_segment_fixed_size: 0
    .kernarg_segment_align: 8
    .kernarg_segment_size: 600
    .language:       OpenCL C
    .language_version:
      - 2
      - 0
    .max_flat_workgroup_size: 1024
    .name:           _ZN2at6native12_GLOBAL__N_131fractional_max_pool3d_out_frameIN3c108BFloat16EEEvN5torch10headeronly6detail27GenericPackedTensorAccessorINS7_14TensorAccessorINS3_8ArrayRefIlEEKT_Lm4ENS6_16DefaultPtrTraitsElEENS_6detail16IndexBoundsCheckILm5ElEESD_Lm5ESE_lEENS8_INS9_ISB_SC_Lm4ESE_lEESI_SC_Lm5ESE_lEENS8_INS9_ISB_lLm4ESE_lEESI_lLm5ESE_lEENS8_INS9_ISB_SD_Lm2ESE_lEENSH_ILm3ElEESD_Lm3ESE_lEElll
    .private_segment_fixed_size: 0
    .sgpr_count:     32
    .sgpr_spill_count: 0
    .symbol:         _ZN2at6native12_GLOBAL__N_131fractional_max_pool3d_out_frameIN3c108BFloat16EEEvN5torch10headeronly6detail27GenericPackedTensorAccessorINS7_14TensorAccessorINS3_8ArrayRefIlEEKT_Lm4ENS6_16DefaultPtrTraitsElEENS_6detail16IndexBoundsCheckILm5ElEESD_Lm5ESE_lEENS8_INS9_ISB_SC_Lm4ESE_lEESI_SC_Lm5ESE_lEENS8_INS9_ISB_lLm4ESE_lEESI_lLm5ESE_lEENS8_INS9_ISB_SD_Lm2ESE_lEENSH_ILm3ElEESD_Lm3ESE_lEElll.kd
    .uniform_work_group_size: 1
    .uses_dynamic_stack: false
    .vgpr_count:     46
    .vgpr_spill_count: 0
    .wavefront_size: 32
amdhsa.target:   amdgcn-amd-amdhsa--gfx1250
amdhsa.version:
  - 1
  - 2
...

	.end_amdgpu_metadata
